;; amdgpu-corpus repo=ROCm/rocFFT kind=compiled arch=gfx1030 opt=O3
	.text
	.amdgcn_target "amdgcn-amd-amdhsa--gfx1030"
	.amdhsa_code_object_version 6
	.protected	fft_rtc_back_len544_factors_17_2_16_wgs_102_tpt_34_halfLds_dp_ip_CI_unitstride_sbrr_R2C_dirReg ; -- Begin function fft_rtc_back_len544_factors_17_2_16_wgs_102_tpt_34_halfLds_dp_ip_CI_unitstride_sbrr_R2C_dirReg
	.globl	fft_rtc_back_len544_factors_17_2_16_wgs_102_tpt_34_halfLds_dp_ip_CI_unitstride_sbrr_R2C_dirReg
	.p2align	8
	.type	fft_rtc_back_len544_factors_17_2_16_wgs_102_tpt_34_halfLds_dp_ip_CI_unitstride_sbrr_R2C_dirReg,@function
fft_rtc_back_len544_factors_17_2_16_wgs_102_tpt_34_halfLds_dp_ip_CI_unitstride_sbrr_R2C_dirReg: ; @fft_rtc_back_len544_factors_17_2_16_wgs_102_tpt_34_halfLds_dp_ip_CI_unitstride_sbrr_R2C_dirReg
; %bb.0:
	s_load_dwordx4 s[8:11], s[4:5], 0x0
	v_mul_u32_u24_e32 v1, 0x788, v0
	s_clause 0x1
	s_load_dwordx2 s[2:3], s[4:5], 0x50
	s_load_dwordx2 s[12:13], s[4:5], 0x18
	v_mov_b32_e32 v5, 0
	v_mov_b32_e32 v3, 0
	;; [unrolled: 1-line block ×3, first 2 shown]
	v_lshrrev_b32_e32 v1, 16, v1
	v_mad_u64_u32 v[1:2], null, s6, 3, v[1:2]
	v_mov_b32_e32 v2, v5
	v_mov_b32_e32 v10, v2
	;; [unrolled: 1-line block ×3, first 2 shown]
	s_waitcnt lgkmcnt(0)
	v_cmp_lt_u64_e64 s0, s[10:11], 2
	s_and_b32 vcc_lo, exec_lo, s0
	s_cbranch_vccnz .LBB0_8
; %bb.1:
	s_load_dwordx2 s[0:1], s[4:5], 0x10
	v_mov_b32_e32 v3, 0
	v_mov_b32_e32 v8, v2
	s_add_u32 s6, s12, 8
	v_mov_b32_e32 v4, 0
	v_mov_b32_e32 v7, v1
	s_addc_u32 s7, s13, 0
	s_mov_b64 s[16:17], 1
	s_waitcnt lgkmcnt(0)
	s_add_u32 s14, s0, 8
	s_addc_u32 s15, s1, 0
.LBB0_2:                                ; =>This Inner Loop Header: Depth=1
	s_load_dwordx2 s[18:19], s[14:15], 0x0
                                        ; implicit-def: $vgpr9_vgpr10
	s_mov_b32 s0, exec_lo
	s_waitcnt lgkmcnt(0)
	v_or_b32_e32 v6, s19, v8
	v_cmpx_ne_u64_e32 0, v[5:6]
	s_xor_b32 s1, exec_lo, s0
	s_cbranch_execz .LBB0_4
; %bb.3:                                ;   in Loop: Header=BB0_2 Depth=1
	v_cvt_f32_u32_e32 v2, s18
	v_cvt_f32_u32_e32 v6, s19
	s_sub_u32 s0, 0, s18
	s_subb_u32 s20, 0, s19
	v_fmac_f32_e32 v2, 0x4f800000, v6
	v_rcp_f32_e32 v2, v2
	v_mul_f32_e32 v2, 0x5f7ffffc, v2
	v_mul_f32_e32 v6, 0x2f800000, v2
	v_trunc_f32_e32 v6, v6
	v_fmac_f32_e32 v2, 0xcf800000, v6
	v_cvt_u32_f32_e32 v6, v6
	v_cvt_u32_f32_e32 v2, v2
	v_mul_lo_u32 v9, s0, v6
	v_mul_hi_u32 v10, s0, v2
	v_mul_lo_u32 v11, s20, v2
	v_add_nc_u32_e32 v9, v10, v9
	v_mul_lo_u32 v10, s0, v2
	v_add_nc_u32_e32 v9, v9, v11
	v_mul_hi_u32 v11, v2, v10
	v_mul_lo_u32 v12, v2, v9
	v_mul_hi_u32 v13, v2, v9
	v_mul_hi_u32 v14, v6, v10
	v_mul_lo_u32 v10, v6, v10
	v_mul_hi_u32 v15, v6, v9
	v_mul_lo_u32 v9, v6, v9
	v_add_co_u32 v11, vcc_lo, v11, v12
	v_add_co_ci_u32_e32 v12, vcc_lo, 0, v13, vcc_lo
	v_add_co_u32 v10, vcc_lo, v11, v10
	v_add_co_ci_u32_e32 v10, vcc_lo, v12, v14, vcc_lo
	v_add_co_ci_u32_e32 v11, vcc_lo, 0, v15, vcc_lo
	v_add_co_u32 v9, vcc_lo, v10, v9
	v_add_co_ci_u32_e32 v10, vcc_lo, 0, v11, vcc_lo
	v_add_co_u32 v2, vcc_lo, v2, v9
	v_add_co_ci_u32_e32 v6, vcc_lo, v6, v10, vcc_lo
	v_mul_hi_u32 v9, s0, v2
	v_mul_lo_u32 v11, s20, v2
	v_mul_lo_u32 v10, s0, v6
	v_add_nc_u32_e32 v9, v9, v10
	v_mul_lo_u32 v10, s0, v2
	v_add_nc_u32_e32 v9, v9, v11
	v_mul_hi_u32 v11, v2, v10
	v_mul_lo_u32 v12, v2, v9
	v_mul_hi_u32 v13, v2, v9
	v_mul_hi_u32 v14, v6, v10
	v_mul_lo_u32 v10, v6, v10
	v_mul_hi_u32 v15, v6, v9
	v_mul_lo_u32 v9, v6, v9
	v_add_co_u32 v11, vcc_lo, v11, v12
	v_add_co_ci_u32_e32 v12, vcc_lo, 0, v13, vcc_lo
	v_add_co_u32 v10, vcc_lo, v11, v10
	v_add_co_ci_u32_e32 v10, vcc_lo, v12, v14, vcc_lo
	v_add_co_ci_u32_e32 v11, vcc_lo, 0, v15, vcc_lo
	v_add_co_u32 v9, vcc_lo, v10, v9
	v_add_co_ci_u32_e32 v10, vcc_lo, 0, v11, vcc_lo
	v_add_co_u32 v2, vcc_lo, v2, v9
	v_add_co_ci_u32_e32 v6, vcc_lo, v6, v10, vcc_lo
	v_mul_hi_u32 v15, v7, v2
	v_mad_u64_u32 v[11:12], null, v8, v2, 0
	v_mad_u64_u32 v[9:10], null, v7, v6, 0
	v_mad_u64_u32 v[13:14], null, v8, v6, 0
	v_add_co_u32 v2, vcc_lo, v15, v9
	v_add_co_ci_u32_e32 v6, vcc_lo, 0, v10, vcc_lo
	v_add_co_u32 v2, vcc_lo, v2, v11
	v_add_co_ci_u32_e32 v2, vcc_lo, v6, v12, vcc_lo
	v_add_co_ci_u32_e32 v6, vcc_lo, 0, v14, vcc_lo
	v_add_co_u32 v2, vcc_lo, v2, v13
	v_add_co_ci_u32_e32 v6, vcc_lo, 0, v6, vcc_lo
	v_mul_lo_u32 v11, s19, v2
	v_mad_u64_u32 v[9:10], null, s18, v2, 0
	v_mul_lo_u32 v12, s18, v6
	v_sub_co_u32 v9, vcc_lo, v7, v9
	v_add3_u32 v10, v10, v12, v11
	v_sub_nc_u32_e32 v11, v8, v10
	v_subrev_co_ci_u32_e64 v11, s0, s19, v11, vcc_lo
	v_add_co_u32 v12, s0, v2, 2
	v_add_co_ci_u32_e64 v13, s0, 0, v6, s0
	v_sub_co_u32 v14, s0, v9, s18
	v_sub_co_ci_u32_e32 v10, vcc_lo, v8, v10, vcc_lo
	v_subrev_co_ci_u32_e64 v11, s0, 0, v11, s0
	v_cmp_le_u32_e32 vcc_lo, s18, v14
	v_cmp_eq_u32_e64 s0, s19, v10
	v_cndmask_b32_e64 v14, 0, -1, vcc_lo
	v_cmp_le_u32_e32 vcc_lo, s19, v11
	v_cndmask_b32_e64 v15, 0, -1, vcc_lo
	v_cmp_le_u32_e32 vcc_lo, s18, v9
	;; [unrolled: 2-line block ×3, first 2 shown]
	v_cndmask_b32_e64 v16, 0, -1, vcc_lo
	v_cmp_eq_u32_e32 vcc_lo, s19, v11
	v_cndmask_b32_e64 v9, v16, v9, s0
	v_cndmask_b32_e32 v11, v15, v14, vcc_lo
	v_add_co_u32 v14, vcc_lo, v2, 1
	v_add_co_ci_u32_e32 v15, vcc_lo, 0, v6, vcc_lo
	v_cmp_ne_u32_e32 vcc_lo, 0, v11
	v_cndmask_b32_e32 v10, v15, v13, vcc_lo
	v_cndmask_b32_e32 v11, v14, v12, vcc_lo
	v_cmp_ne_u32_e32 vcc_lo, 0, v9
	v_cndmask_b32_e32 v10, v6, v10, vcc_lo
	v_cndmask_b32_e32 v9, v2, v11, vcc_lo
.LBB0_4:                                ;   in Loop: Header=BB0_2 Depth=1
	s_andn2_saveexec_b32 s0, s1
	s_cbranch_execz .LBB0_6
; %bb.5:                                ;   in Loop: Header=BB0_2 Depth=1
	v_cvt_f32_u32_e32 v2, s18
	s_sub_i32 s1, 0, s18
	v_rcp_iflag_f32_e32 v2, v2
	v_mul_f32_e32 v2, 0x4f7ffffe, v2
	v_cvt_u32_f32_e32 v2, v2
	v_mul_lo_u32 v6, s1, v2
	v_mul_hi_u32 v6, v2, v6
	v_add_nc_u32_e32 v2, v2, v6
	v_mul_hi_u32 v2, v7, v2
	v_mul_lo_u32 v6, v2, s18
	v_add_nc_u32_e32 v9, 1, v2
	v_sub_nc_u32_e32 v6, v7, v6
	v_subrev_nc_u32_e32 v10, s18, v6
	v_cmp_le_u32_e32 vcc_lo, s18, v6
	v_cndmask_b32_e32 v6, v6, v10, vcc_lo
	v_cndmask_b32_e32 v2, v2, v9, vcc_lo
	v_mov_b32_e32 v10, v5
	v_cmp_le_u32_e32 vcc_lo, s18, v6
	v_add_nc_u32_e32 v9, 1, v2
	v_cndmask_b32_e32 v9, v2, v9, vcc_lo
.LBB0_6:                                ;   in Loop: Header=BB0_2 Depth=1
	s_or_b32 exec_lo, exec_lo, s0
	s_load_dwordx2 s[0:1], s[6:7], 0x0
	v_mul_lo_u32 v2, v10, s18
	v_mul_lo_u32 v6, v9, s19
	v_mad_u64_u32 v[11:12], null, v9, s18, 0
	s_add_u32 s16, s16, 1
	s_addc_u32 s17, s17, 0
	s_add_u32 s6, s6, 8
	s_addc_u32 s7, s7, 0
	;; [unrolled: 2-line block ×3, first 2 shown]
	v_add3_u32 v2, v12, v6, v2
	v_sub_co_u32 v6, vcc_lo, v7, v11
	v_sub_co_ci_u32_e32 v2, vcc_lo, v8, v2, vcc_lo
	s_waitcnt lgkmcnt(0)
	v_mul_lo_u32 v7, s1, v6
	v_mul_lo_u32 v2, s0, v2
	v_mad_u64_u32 v[3:4], null, s0, v6, v[3:4]
	v_cmp_ge_u64_e64 s0, s[16:17], s[10:11]
	s_and_b32 vcc_lo, exec_lo, s0
	v_add3_u32 v4, v7, v4, v2
	s_cbranch_vccnz .LBB0_8
; %bb.7:                                ;   in Loop: Header=BB0_2 Depth=1
	v_mov_b32_e32 v7, v9
	v_mov_b32_e32 v8, v10
	s_branch .LBB0_2
.LBB0_8:
	s_lshl_b64 s[0:1], s[10:11], 3
	v_mul_hi_u32 v2, 0xaaaaaaab, v1
	s_add_u32 s0, s12, s0
	s_addc_u32 s1, s13, s1
	s_load_dwordx2 s[4:5], s[4:5], 0x20
	s_load_dwordx2 s[0:1], s[0:1], 0x0
	v_mul_hi_u32 v5, 0x7878788, v0
	v_lshrrev_b32_e32 v2, 1, v2
	v_lshl_add_u32 v6, v2, 1, v2
	v_sub_nc_u32_e32 v1, v1, v6
	s_waitcnt lgkmcnt(0)
	v_cmp_gt_u64_e32 vcc_lo, s[4:5], v[9:10]
	v_mul_lo_u32 v7, s0, v10
	v_mul_lo_u32 v8, s1, v9
	v_mad_u64_u32 v[2:3], null, s0, v9, v[3:4]
	v_mul_u32_u24_e32 v4, 34, v5
	v_mul_u32_u24_e32 v1, 0x221, v1
	v_sub_nc_u32_e32 v68, v0, v4
	v_add3_u32 v3, v8, v3, v7
	v_lshlrev_b32_e32 v107, 4, v1
	v_lshlrev_b32_e32 v105, 4, v68
	v_lshlrev_b64 v[70:71], 4, v[2:3]
	s_and_saveexec_b32 s1, vcc_lo
	s_cbranch_execz .LBB0_10
; %bb.9:
	v_mov_b32_e32 v69, 0
	v_add_co_u32 v2, s0, s2, v70
	v_add_co_ci_u32_e64 v3, s0, s3, v71, s0
	v_lshlrev_b64 v[0:1], 4, v[68:69]
	v_add3_u32 v64, 0, v107, v105
	v_add_co_u32 v16, s0, v2, v0
	v_add_co_ci_u32_e64 v17, s0, v3, v1, s0
	s_clause 0x3
	global_load_dwordx4 v[0:3], v[16:17], off
	global_load_dwordx4 v[4:7], v[16:17], off offset:544
	global_load_dwordx4 v[8:11], v[16:17], off offset:1088
	;; [unrolled: 1-line block ×3, first 2 shown]
	v_add_co_u32 v28, s0, 0x800, v16
	v_add_co_ci_u32_e64 v29, s0, 0, v17, s0
	v_add_co_u32 v44, s0, 0x1000, v16
	v_add_co_ci_u32_e64 v45, s0, 0, v17, s0
	v_add_co_u32 v60, s0, 0x1800, v16
	v_add_co_ci_u32_e64 v61, s0, 0, v17, s0
	s_clause 0xb
	global_load_dwordx4 v[16:19], v[28:29], off offset:128
	global_load_dwordx4 v[20:23], v[28:29], off offset:672
	;; [unrolled: 1-line block ×12, first 2 shown]
	s_waitcnt vmcnt(15)
	ds_write_b128 v64, v[0:3]
	s_waitcnt vmcnt(14)
	ds_write_b128 v64, v[4:7] offset:544
	s_waitcnt vmcnt(13)
	ds_write_b128 v64, v[8:11] offset:1088
	;; [unrolled: 2-line block ×15, first 2 shown]
.LBB0_10:
	s_or_b32 exec_lo, exec_lo, s1
	v_add_nc_u32_e32 v69, 0, v107
	v_add3_u32 v106, 0, v105, v107
	s_waitcnt lgkmcnt(0)
	s_barrier
	buffer_gl0_inv
	v_add_nc_u32_e32 v104, v69, v105
	s_mov_b32 s33, exec_lo
	ds_read_b128 v[60:63], v106 offset:1024
	ds_read_b128 v[56:59], v106 offset:1536
	ds_read_b128 v[0:3], v104
	ds_read_b128 v[64:67], v106 offset:512
	ds_read_b128 v[52:55], v106 offset:2048
	ds_read_b128 v[48:51], v106 offset:2560
	ds_read_b128 v[44:47], v106 offset:3072
	ds_read_b128 v[40:43], v106 offset:3584
	ds_read_b128 v[32:35], v106 offset:4096
	ds_read_b128 v[36:39], v106 offset:4608
	ds_read_b128 v[28:31], v106 offset:5120
	ds_read_b128 v[24:27], v106 offset:5632
	ds_read_b128 v[20:23], v106 offset:6144
	ds_read_b128 v[16:19], v106 offset:6656
	ds_read_b128 v[12:15], v106 offset:7168
	ds_read_b128 v[8:11], v106 offset:7680
	ds_read_b128 v[4:7], v106 offset:8192
	s_waitcnt lgkmcnt(0)
	s_barrier
	buffer_gl0_inv
	v_cmpx_gt_u32_e32 32, v68
	s_cbranch_execz .LBB0_12
; %bb.11:
	v_add_f64 v[72:73], v[2:3], v[66:67]
	v_add_f64 v[74:75], v[0:1], v[64:65]
	v_add_f64 v[102:103], v[64:65], -v[4:5]
	v_add_f64 v[100:101], v[66:67], -v[6:7]
	s_mov_b32 s4, 0xacd6c6b4
	s_mov_b32 s5, 0xbfc7851a
	v_add_f64 v[94:95], v[60:61], -v[8:9]
	v_add_f64 v[90:91], v[62:63], -v[10:11]
	v_add_f64 v[96:97], v[66:67], v[6:7]
	v_add_f64 v[98:99], v[64:65], v[4:5]
	s_mov_b32 s10, 0x5d8e7cdc
	s_mov_b32 s0, 0x7faef3
	;; [unrolled: 1-line block ×4, first 2 shown]
	v_add_f64 v[92:93], v[56:57], -v[12:13]
	v_add_f64 v[86:87], v[58:59], -v[14:15]
	v_add_f64 v[66:67], v[62:63], v[10:11]
	s_mov_b32 s14, 0x4363dd80
	s_mov_b32 s6, 0x370991
	;; [unrolled: 1-line block ×4, first 2 shown]
	v_add_f64 v[88:89], v[52:53], -v[16:17]
	v_add_f64 v[72:73], v[72:73], v[62:63]
	v_add_f64 v[74:75], v[74:75], v[60:61]
	v_mul_f64 v[108:109], v[102:103], s[4:5]
	v_mul_f64 v[110:111], v[100:101], s[4:5]
	v_add_f64 v[60:61], v[60:61], v[8:9]
	v_add_f64 v[82:83], v[54:55], -v[18:19]
	v_mul_f64 v[112:113], v[94:95], s[10:11]
	v_mul_f64 v[114:115], v[90:91], s[10:11]
	v_add_f64 v[64:65], v[58:59], v[14:15]
	s_mov_b32 s26, 0x2a9d6da3
	s_mov_b32 s12, 0x910ea3b9
	;; [unrolled: 1-line block ×4, first 2 shown]
	v_add_f64 v[84:85], v[48:49], -v[20:21]
	v_mul_f64 v[116:117], v[92:93], s[14:15]
	v_mul_f64 v[118:119], v[86:87], s[14:15]
	v_add_f64 v[80:81], v[50:51], -v[22:23]
	s_mov_b32 s22, 0x6c9a05f6
	s_mov_b32 s16, 0x75d4884
	;; [unrolled: 1-line block ×4, first 2 shown]
	v_mul_f64 v[120:121], v[88:89], s[26:27]
	v_add_f64 v[72:73], v[72:73], v[58:59]
	v_add_f64 v[74:75], v[74:75], v[56:57]
	;; [unrolled: 1-line block ×3, first 2 shown]
	v_fma_f64 v[76:77], v[98:99], s[0:1], -v[110:111]
	s_mov_b32 s24, 0x7c9e640b
	v_mul_f64 v[122:123], v[82:83], s[26:27]
	s_mov_b32 s18, 0x6ed5f1bb
	v_fma_f64 v[78:79], v[60:61], s[6:7], -v[114:115]
	s_mov_b32 s25, 0x3feca52d
	s_mov_b32 s19, 0xbfe348c8
	;; [unrolled: 1-line block ×5, first 2 shown]
	v_mul_f64 v[128:129], v[84:85], s[22:23]
	v_fma_f64 v[124:125], v[64:65], s[12:13], v[116:117]
	s_mov_b32 s21, 0x3fdc86fa
	v_mul_f64 v[130:131], v[80:81], s[22:23]
	s_mov_b32 s48, 0xeb564b22
	s_mov_b32 s28, 0xc61f0d01
	;; [unrolled: 1-line block ×5, first 2 shown]
	v_add_f64 v[62:63], v[72:73], v[54:55]
	v_add_f64 v[72:73], v[74:75], v[52:53]
	v_fma_f64 v[74:75], v[96:97], s[0:1], v[108:109]
	v_add_f64 v[76:77], v[0:1], v[76:77]
	v_add_f64 v[54:55], v[54:55], v[18:19]
	;; [unrolled: 1-line block ×3, first 2 shown]
	v_fma_f64 v[126:127], v[56:57], s[12:13], -v[118:119]
	s_mov_b32 s35, 0x3fb79ee6
	v_fma_f64 v[108:109], v[96:97], s[0:1], -v[108:109]
	s_mov_b32 s37, 0xbfefdd0d
	s_mov_b32 s41, 0x3feec746
	;; [unrolled: 1-line block ×4, first 2 shown]
	v_mul_f64 v[154:155], v[100:101], s[22:23]
	v_mul_f64 v[156:157], v[92:93], s[36:37]
	;; [unrolled: 1-line block ×4, first 2 shown]
	v_fma_f64 v[114:115], v[60:61], s[6:7], v[114:115]
	s_mov_b32 s47, 0x3fe9895b
	s_mov_b32 s39, 0xbfd71e95
	;; [unrolled: 1-line block ×4, first 2 shown]
	v_add_f64 v[58:59], v[62:63], v[50:51]
	v_add_f64 v[62:63], v[72:73], v[48:49]
	v_fma_f64 v[72:73], v[66:67], s[6:7], v[112:113]
	v_add_f64 v[74:75], v[2:3], v[74:75]
	v_add_f64 v[50:51], v[50:51], v[22:23]
	;; [unrolled: 1-line block ×3, first 2 shown]
	v_fma_f64 v[132:133], v[54:55], s[16:17], v[120:121]
	v_fma_f64 v[134:135], v[52:53], s[16:17], -v[122:123]
	v_fma_f64 v[112:113], v[66:67], s[6:7], -v[112:113]
	v_add_f64 v[108:109], v[2:3], v[108:109]
	v_fma_f64 v[116:117], v[64:65], s[12:13], -v[116:117]
	v_fma_f64 v[118:119], v[56:57], s[12:13], v[118:119]
	v_fma_f64 v[120:121], v[54:55], s[16:17], -v[120:121]
	v_fma_f64 v[122:123], v[52:53], s[16:17], v[122:123]
	s_mov_b32 s45, 0x3fe0d888
	s_mov_b32 s44, s14
	;; [unrolled: 1-line block ×6, first 2 shown]
	v_add_f64 v[58:59], v[58:59], v[46:47]
	v_add_f64 v[62:63], v[62:63], v[44:45]
	v_add_f64 v[72:73], v[72:73], v[74:75]
	v_add_f64 v[74:75], v[78:79], v[76:77]
	v_add_f64 v[78:79], v[44:45], -v[24:25]
	v_add_f64 v[76:77], v[46:47], -v[26:27]
	v_add_f64 v[46:47], v[46:47], v[26:27]
	v_add_f64 v[44:45], v[44:45], v[24:25]
	v_fma_f64 v[144:145], v[50:51], s[18:19], v[128:129]
	v_fma_f64 v[146:147], v[48:49], s[18:19], -v[130:131]
	v_add_f64 v[108:109], v[112:113], v[108:109]
	v_mul_f64 v[112:113], v[90:91], s[40:41]
	v_fma_f64 v[128:129], v[50:51], s[18:19], -v[128:129]
	v_fma_f64 v[130:131], v[48:49], s[18:19], v[130:131]
	v_add_f64 v[58:59], v[58:59], v[42:43]
	v_add_f64 v[62:63], v[62:63], v[40:41]
	;; [unrolled: 1-line block ×4, first 2 shown]
	v_add_f64 v[74:75], v[40:41], -v[28:29]
	v_add_f64 v[72:73], v[42:43], -v[30:31]
	v_mul_f64 v[140:141], v[78:79], s[24:25]
	v_mul_f64 v[142:143], v[76:77], s[24:25]
	v_add_f64 v[42:43], v[42:43], v[30:31]
	v_add_f64 v[40:41], v[40:41], v[28:29]
	;; [unrolled: 1-line block ×3, first 2 shown]
	v_mul_f64 v[116:117], v[84:85], s[38:39]
	v_add_f64 v[136:137], v[58:59], v[34:35]
	v_add_f64 v[138:139], v[62:63], v[32:33]
	v_add_f64 v[62:63], v[32:33], -v[36:37]
	v_add_f64 v[124:125], v[132:133], v[124:125]
	v_add_f64 v[126:127], v[134:135], v[126:127]
	v_add_f64 v[58:59], v[34:35], -v[38:39]
	v_add_f64 v[34:35], v[34:35], v[38:39]
	v_fma_f64 v[148:149], v[46:47], s[20:21], v[140:141]
	v_fma_f64 v[150:151], v[44:45], s[20:21], -v[142:143]
	v_add_f64 v[32:33], v[32:33], v[36:37]
	v_fma_f64 v[140:141], v[46:47], s[20:21], -v[140:141]
	v_add_f64 v[108:109], v[120:121], v[108:109]
	v_mul_f64 v[120:121], v[76:77], s[4:5]
	v_fma_f64 v[142:143], v[44:45], s[20:21], v[142:143]
	v_add_f64 v[132:133], v[136:137], v[38:39]
	v_add_f64 v[134:135], v[138:139], v[36:37]
	v_mul_f64 v[136:137], v[74:75], s[30:31]
	v_mul_f64 v[138:139], v[72:73], s[30:31]
	v_add_f64 v[124:125], v[144:145], v[124:125]
	v_add_f64 v[126:127], v[146:147], v[126:127]
	v_mul_f64 v[146:147], v[100:101], s[14:15]
	v_add_f64 v[108:109], v[128:129], v[108:109]
	v_mul_f64 v[128:129], v[62:63], s[30:31]
	v_add_f64 v[36:37], v[132:133], v[30:31]
	v_add_f64 v[38:39], v[134:135], v[28:29]
	v_mul_f64 v[28:29], v[62:63], s[48:49]
	v_mul_f64 v[30:31], v[58:59], s[48:49]
	;; [unrolled: 1-line block ×3, first 2 shown]
	v_fma_f64 v[134:135], v[42:43], s[28:29], v[136:137]
	v_fma_f64 v[144:145], v[40:41], s[28:29], -v[138:139]
	v_add_f64 v[124:125], v[148:149], v[124:125]
	v_add_f64 v[126:127], v[150:151], v[126:127]
	v_fma_f64 v[152:153], v[98:99], s[12:13], -v[146:147]
	v_fma_f64 v[146:147], v[98:99], s[12:13], v[146:147]
	v_add_f64 v[108:109], v[140:141], v[108:109]
	v_fma_f64 v[136:137], v[42:43], s[28:29], -v[136:137]
	v_fma_f64 v[138:139], v[40:41], s[28:29], v[138:139]
	v_mul_f64 v[140:141], v[58:59], s[30:31]
	v_add_f64 v[26:27], v[36:37], v[26:27]
	v_add_f64 v[24:25], v[38:39], v[24:25]
	v_mul_f64 v[36:37], v[94:95], s[24:25]
	v_fma_f64 v[38:39], v[98:99], s[0:1], v[110:111]
	v_fma_f64 v[110:111], v[34:35], s[34:35], v[28:29]
	v_fma_f64 v[148:149], v[32:33], s[34:35], -v[30:31]
	v_fma_f64 v[150:151], v[96:97], s[12:13], v[132:133]
	v_add_f64 v[124:125], v[134:135], v[124:125]
	v_add_f64 v[126:127], v[144:145], v[126:127]
	v_mul_f64 v[134:135], v[102:103], s[22:23]
	v_mul_f64 v[144:145], v[90:91], s[24:25]
	v_fma_f64 v[132:133], v[96:97], s[12:13], -v[132:133]
	v_add_f64 v[146:147], v[0:1], v[146:147]
	v_add_f64 v[108:109], v[136:137], v[108:109]
	v_fma_f64 v[30:31], v[32:33], s[34:35], v[30:31]
	v_add_f64 v[26:27], v[26:27], v[22:23]
	v_add_f64 v[24:25], v[24:25], v[20:21]
	v_fma_f64 v[162:163], v[66:67], s[20:21], v[36:37]
	v_add_f64 v[38:39], v[0:1], v[38:39]
	v_fma_f64 v[36:37], v[66:67], s[20:21], -v[36:37]
	v_add_f64 v[150:151], v[2:3], v[150:151]
	v_add_f64 v[22:23], v[110:111], v[124:125]
	;; [unrolled: 1-line block ×3, first 2 shown]
	v_fma_f64 v[110:111], v[96:97], s[18:19], v[134:135]
	v_fma_f64 v[124:125], v[60:61], s[20:21], -v[144:145]
	v_add_f64 v[126:127], v[0:1], v[152:153]
	v_add_f64 v[132:133], v[2:3], v[132:133]
	v_fma_f64 v[144:145], v[60:61], s[20:21], v[144:145]
	v_fma_f64 v[134:135], v[96:97], s[18:19], -v[134:135]
	v_fma_f64 v[152:153], v[64:65], s[34:35], -v[156:157]
	v_add_f64 v[18:19], v[26:27], v[18:19]
	v_add_f64 v[16:17], v[24:25], v[16:17]
	v_mul_f64 v[24:25], v[88:89], s[46:47]
	v_mul_f64 v[26:27], v[92:93], s[38:39]
	v_add_f64 v[38:39], v[114:115], v[38:39]
	v_fma_f64 v[114:115], v[98:99], s[18:19], -v[154:155]
	v_add_f64 v[148:149], v[162:163], v[150:151]
	v_fma_f64 v[150:151], v[66:67], s[28:29], v[158:159]
	v_fma_f64 v[158:159], v[66:67], s[28:29], -v[158:159]
	v_add_f64 v[110:111], v[2:3], v[110:111]
	v_fma_f64 v[154:155], v[98:99], s[18:19], v[154:155]
	v_add_f64 v[124:125], v[124:125], v[126:127]
	v_fma_f64 v[126:127], v[64:65], s[34:35], v[156:157]
	v_add_f64 v[36:37], v[36:37], v[132:133]
	v_fma_f64 v[132:133], v[56:57], s[34:35], -v[160:161]
	v_add_f64 v[144:145], v[144:145], v[146:147]
	v_mul_f64 v[146:147], v[82:83], s[46:47]
	v_fma_f64 v[156:157], v[56:57], s[34:35], v[160:161]
	v_add_f64 v[134:135], v[2:3], v[134:135]
	v_fma_f64 v[160:161], v[34:35], s[34:35], -v[28:29]
	v_mul_f64 v[28:29], v[62:63], s[24:25]
	v_add_f64 v[14:15], v[18:19], v[14:15]
	v_add_f64 v[12:13], v[16:17], v[12:13]
	v_mul_f64 v[16:17], v[86:87], s[38:39]
	v_mul_f64 v[18:19], v[88:89], s[14:15]
	v_add_f64 v[38:39], v[118:119], v[38:39]
	v_fma_f64 v[118:119], v[60:61], s[28:29], -v[112:113]
	v_add_f64 v[114:115], v[0:1], v[114:115]
	v_fma_f64 v[112:113], v[60:61], s[28:29], v[112:113]
	v_add_f64 v[110:111], v[150:151], v[110:111]
	v_fma_f64 v[150:151], v[64:65], s[6:7], v[26:27]
	v_fma_f64 v[26:27], v[64:65], s[6:7], -v[26:27]
	v_add_f64 v[126:127], v[126:127], v[148:149]
	v_fma_f64 v[148:149], v[54:55], s[18:19], v[24:25]
	v_add_f64 v[124:125], v[132:133], v[124:125]
	v_add_f64 v[36:37], v[152:153], v[36:37]
	v_fma_f64 v[132:133], v[52:53], s[18:19], -v[146:147]
	v_mul_f64 v[152:153], v[80:81], s[38:39]
	v_fma_f64 v[24:25], v[54:55], s[18:19], -v[24:25]
	v_add_f64 v[144:145], v[156:157], v[144:145]
	v_mul_f64 v[156:157], v[78:79], s[4:5]
	v_fma_f64 v[146:147], v[52:53], s[18:19], v[146:147]
	v_add_f64 v[134:135], v[158:159], v[134:135]
	v_add_f64 v[154:155], v[0:1], v[154:155]
	v_fma_f64 v[158:159], v[56:57], s[6:7], -v[16:17]
	v_fma_f64 v[16:17], v[56:57], s[6:7], v[16:17]
	v_add_f64 v[38:39], v[122:123], v[38:39]
	v_mul_f64 v[122:123], v[82:83], s[14:15]
	v_add_f64 v[114:115], v[118:119], v[114:115]
	v_mul_f64 v[118:119], v[84:85], s[48:49]
	v_add_f64 v[162:163], v[14:15], v[10:11]
	v_add_f64 v[164:165], v[12:13], v[8:9]
	;; [unrolled: 1-line block ×3, first 2 shown]
	v_fma_f64 v[150:151], v[54:55], s[12:13], v[18:19]
	v_fma_f64 v[18:19], v[54:55], s[12:13], -v[18:19]
	v_add_f64 v[126:127], v[148:149], v[126:127]
	v_fma_f64 v[148:149], v[50:51], s[6:7], v[116:117]
	v_fma_f64 v[116:117], v[50:51], s[6:7], -v[116:117]
	v_add_f64 v[124:125], v[132:133], v[124:125]
	v_fma_f64 v[132:133], v[48:49], s[6:7], -v[152:153]
	v_add_f64 v[24:25], v[24:25], v[36:37]
	v_mul_f64 v[36:37], v[74:75], s[26:27]
	v_fma_f64 v[152:153], v[48:49], s[6:7], v[152:153]
	v_add_f64 v[144:145], v[146:147], v[144:145]
	v_mul_f64 v[146:147], v[72:73], s[26:27]
	v_add_f64 v[26:27], v[26:27], v[134:135]
	v_mul_f64 v[134:135], v[94:95], s[44:45]
	v_add_f64 v[112:113], v[112:113], v[154:155]
	v_add_f64 v[38:39], v[130:131], v[38:39]
	v_mul_f64 v[130:131], v[80:81], s[48:49]
	v_add_f64 v[114:115], v[158:159], v[114:115]
	v_fma_f64 v[158:159], v[52:53], s[12:13], -v[122:123]
	v_mul_f64 v[154:155], v[74:75], s[4:5]
	v_fma_f64 v[12:13], v[34:35], s[28:29], v[128:129]
	v_fma_f64 v[122:123], v[52:53], s[12:13], v[122:123]
	v_add_f64 v[110:111], v[150:151], v[110:111]
	v_mul_f64 v[150:151], v[102:103], s[30:31]
	v_add_f64 v[10:11], v[160:161], v[108:109]
	v_add_f64 v[126:127], v[148:149], v[126:127]
	v_fma_f64 v[148:149], v[50:51], s[34:35], v[118:119]
	v_mul_f64 v[108:109], v[102:103], s[36:37]
	v_add_f64 v[124:125], v[132:133], v[124:125]
	v_fma_f64 v[132:133], v[46:47], s[0:1], v[156:157]
	v_add_f64 v[24:25], v[116:117], v[24:25]
	v_fma_f64 v[116:117], v[44:45], s[0:1], -v[120:121]
	v_fma_f64 v[156:157], v[46:47], s[0:1], -v[156:157]
	v_add_f64 v[144:145], v[152:153], v[144:145]
	v_fma_f64 v[120:121], v[44:45], s[0:1], v[120:121]
	v_mul_f64 v[152:153], v[78:79], s[42:43]
	v_fma_f64 v[14:15], v[66:67], s[12:13], v[134:135]
	v_add_f64 v[38:39], v[142:143], v[38:39]
	v_mul_f64 v[142:143], v[76:77], s[42:43]
	v_fma_f64 v[136:137], v[48:49], s[34:35], -v[130:131]
	v_add_f64 v[114:115], v[158:159], v[114:115]
	v_mul_f64 v[158:159], v[100:101], s[30:31]
	v_add_f64 v[16:17], v[16:17], v[112:113]
	v_fma_f64 v[112:113], v[32:33], s[28:29], -v[140:141]
	v_add_f64 v[26:27], v[18:19], v[26:27]
	v_fma_f64 v[134:135], v[66:67], s[12:13], -v[134:135]
	v_fma_f64 v[128:129], v[34:35], s[28:29], -v[128:129]
	v_fma_f64 v[140:141], v[32:33], s[28:29], v[140:141]
	v_add_f64 v[110:111], v[148:149], v[110:111]
	v_fma_f64 v[148:149], v[96:97], s[28:29], v[150:151]
	v_add_f64 v[6:7], v[162:163], v[6:7]
	v_add_f64 v[126:127], v[132:133], v[126:127]
	v_fma_f64 v[132:133], v[42:43], s[16:17], v[36:37]
	v_add_f64 v[116:117], v[116:117], v[124:125]
	v_fma_f64 v[124:125], v[40:41], s[16:17], -v[146:147]
	v_add_f64 v[24:25], v[156:157], v[24:25]
	v_fma_f64 v[36:37], v[42:43], s[16:17], -v[36:37]
	v_add_f64 v[120:121], v[120:121], v[144:145]
	v_mul_f64 v[144:145], v[92:93], s[26:27]
	v_add_f64 v[38:39], v[138:139], v[38:39]
	v_fma_f64 v[146:147], v[40:41], s[16:17], v[146:147]
	v_mul_f64 v[156:157], v[72:73], s[4:5]
	v_fma_f64 v[138:139], v[46:47], s[16:17], v[152:153]
	v_add_f64 v[114:115], v[136:137], v[114:115]
	v_fma_f64 v[136:137], v[44:45], s[16:17], -v[142:143]
	v_fma_f64 v[18:19], v[98:99], s[28:29], v[158:159]
	v_mul_f64 v[160:161], v[100:101], s[36:37]
	v_mul_f64 v[162:163], v[84:85], s[4:5]
	v_fma_f64 v[118:119], v[50:51], s[34:35], -v[118:119]
	v_fma_f64 v[152:153], v[46:47], s[16:17], -v[152:153]
	v_add_f64 v[4:5], v[164:165], v[4:5]
	v_add_f64 v[148:149], v[2:3], v[148:149]
	;; [unrolled: 1-line block ×3, first 2 shown]
	v_mul_f64 v[132:133], v[90:91], s[44:45]
	v_add_f64 v[116:117], v[124:125], v[116:117]
	v_fma_f64 v[124:125], v[98:99], s[28:29], -v[158:159]
	v_add_f64 v[24:25], v[36:37], v[24:25]
	v_fma_f64 v[36:37], v[96:97], s[28:29], -v[150:151]
	v_mul_f64 v[158:159], v[86:87], s[26:27]
	v_add_f64 v[8:9], v[30:31], v[38:39]
	v_add_f64 v[38:39], v[146:147], v[120:121]
	v_fma_f64 v[146:147], v[64:65], s[16:17], v[144:145]
	v_add_f64 v[110:111], v[138:139], v[110:111]
	v_fma_f64 v[138:139], v[42:43], s[0:1], v[154:155]
	v_mul_f64 v[30:31], v[58:59], s[24:25]
	v_fma_f64 v[144:145], v[64:65], s[16:17], -v[144:145]
	v_fma_f64 v[154:155], v[42:43], s[0:1], -v[154:155]
	v_add_f64 v[118:119], v[118:119], v[26:27]
	v_add_f64 v[120:121], v[14:15], v[148:149]
	v_mul_f64 v[148:149], v[88:89], s[50:51]
	v_add_f64 v[14:15], v[12:13], v[126:127]
	v_fma_f64 v[150:151], v[60:61], s[12:13], -v[132:133]
	v_add_f64 v[12:13], v[112:113], v[116:117]
	v_add_f64 v[124:125], v[0:1], v[124:125]
	;; [unrolled: 1-line block ×4, first 2 shown]
	v_fma_f64 v[114:115], v[40:41], s[0:1], -v[156:157]
	v_add_f64 v[116:117], v[122:123], v[16:17]
	v_fma_f64 v[122:123], v[48:49], s[34:35], v[130:131]
	v_fma_f64 v[126:127], v[60:61], s[12:13], v[132:133]
	v_add_f64 v[130:131], v[0:1], v[18:19]
	v_fma_f64 v[132:133], v[96:97], s[34:35], v[108:109]
	v_mul_f64 v[136:137], v[94:95], s[4:5]
	v_add_f64 v[18:19], v[128:129], v[24:25]
	v_add_f64 v[24:25], v[138:139], v[110:111]
	v_fma_f64 v[110:111], v[34:35], s[20:21], v[28:29]
	v_add_f64 v[16:17], v[140:141], v[38:39]
	v_mul_f64 v[138:139], v[90:91], s[4:5]
	v_fma_f64 v[140:141], v[50:51], s[0:1], v[162:163]
	v_add_f64 v[120:121], v[146:147], v[120:121]
	v_fma_f64 v[146:147], v[54:55], s[20:21], v[148:149]
	v_fma_f64 v[148:149], v[54:55], s[20:21], -v[148:149]
	v_fma_f64 v[108:109], v[96:97], s[34:35], -v[108:109]
	v_add_f64 v[118:119], v[152:153], v[118:119]
	v_mul_f64 v[152:153], v[72:73], s[38:39]
	v_add_f64 v[124:125], v[150:151], v[124:125]
	v_fma_f64 v[150:151], v[56:57], s[16:17], -v[158:159]
	v_add_f64 v[36:37], v[134:135], v[36:37]
	v_mul_f64 v[134:135], v[82:83], s[50:51]
	v_add_f64 v[38:39], v[114:115], v[112:113]
	v_fma_f64 v[112:113], v[32:33], s[20:21], -v[30:31]
	v_add_f64 v[114:115], v[122:123], v[116:117]
	v_add_f64 v[116:117], v[126:127], v[130:131]
	v_fma_f64 v[122:123], v[56:57], s[16:17], v[158:159]
	v_add_f64 v[126:127], v[2:3], v[132:133]
	v_fma_f64 v[128:129], v[66:67], s[0:1], v[136:137]
	v_mul_f64 v[130:131], v[92:93], s[40:41]
	v_fma_f64 v[132:133], v[98:99], s[34:35], -v[160:161]
	v_add_f64 v[26:27], v[110:111], v[24:25]
	v_fma_f64 v[110:111], v[44:45], s[16:17], v[142:143]
	v_fma_f64 v[158:159], v[50:51], s[0:1], -v[162:163]
	v_fma_f64 v[136:137], v[66:67], s[0:1], -v[136:137]
	v_add_f64 v[120:121], v[146:147], v[120:121]
	v_mul_f64 v[146:147], v[78:79], s[48:49]
	v_add_f64 v[108:109], v[2:3], v[108:109]
	v_add_f64 v[118:119], v[154:155], v[118:119]
	v_fma_f64 v[28:29], v[34:35], s[20:21], -v[28:29]
	v_fma_f64 v[30:31], v[32:33], s[20:21], v[30:31]
	v_add_f64 v[124:125], v[150:151], v[124:125]
	v_add_f64 v[36:37], v[144:145], v[36:37]
	v_fma_f64 v[150:151], v[52:53], s[20:21], -v[134:135]
	v_mul_f64 v[144:145], v[80:81], s[4:5]
	v_add_f64 v[24:25], v[112:113], v[38:39]
	v_fma_f64 v[112:113], v[52:53], s[20:21], v[134:135]
	v_mul_f64 v[134:135], v[86:87], s[40:41]
	v_add_f64 v[38:39], v[122:123], v[116:117]
	v_add_f64 v[116:117], v[128:129], v[126:127]
	v_fma_f64 v[122:123], v[64:65], s[28:29], v[130:131]
	v_mul_f64 v[126:127], v[88:89], s[10:11]
	v_add_f64 v[128:129], v[0:1], v[132:133]
	v_fma_f64 v[132:133], v[60:61], s[0:1], -v[138:139]
	v_add_f64 v[110:111], v[110:111], v[114:115]
	v_fma_f64 v[138:139], v[60:61], s[0:1], v[138:139]
	v_add_f64 v[120:121], v[140:141], v[120:121]
	v_fma_f64 v[140:141], v[46:47], s[34:35], v[146:147]
	v_fma_f64 v[146:147], v[46:47], s[34:35], -v[146:147]
	v_add_f64 v[108:109], v[136:137], v[108:109]
	v_fma_f64 v[130:131], v[64:65], s[28:29], -v[130:131]
	v_mul_f64 v[136:137], v[80:81], s[50:51]
	v_add_f64 v[36:37], v[148:149], v[36:37]
	v_add_f64 v[124:125], v[150:151], v[124:125]
	v_fma_f64 v[142:143], v[48:49], s[0:1], -v[144:145]
	v_mul_f64 v[148:149], v[76:77], s[48:49]
	v_fma_f64 v[150:151], v[98:99], s[34:35], v[160:161]
	v_mul_f64 v[160:161], v[102:103], s[50:51]
	v_add_f64 v[38:39], v[112:113], v[38:39]
	v_fma_f64 v[112:113], v[48:49], s[0:1], v[144:145]
	v_mul_f64 v[144:145], v[82:83], s[10:11]
	v_add_f64 v[114:115], v[122:123], v[116:117]
	v_fma_f64 v[116:117], v[54:55], s[6:7], v[126:127]
	v_mul_f64 v[122:123], v[84:85], s[50:51]
	v_add_f64 v[128:129], v[132:133], v[128:129]
	v_fma_f64 v[132:133], v[56:57], s[28:29], -v[134:135]
	v_fma_f64 v[134:135], v[56:57], s[28:29], v[134:135]
	s_mov_b32 s49, 0x3fc7851a
	v_add_f64 v[120:121], v[140:141], v[120:121]
	v_mul_f64 v[140:141], v[74:75], s[38:39]
	s_mov_b32 s48, s4
	v_add_f64 v[108:109], v[130:131], v[108:109]
	v_mul_f64 v[130:131], v[76:77], s[14:15]
	v_fma_f64 v[126:127], v[54:55], s[6:7], -v[126:127]
	v_add_f64 v[158:159], v[158:159], v[36:37]
	v_fma_f64 v[36:37], v[40:41], s[0:1], v[156:157]
	v_add_f64 v[124:125], v[142:143], v[124:125]
	v_fma_f64 v[142:143], v[44:45], s[34:35], -v[148:149]
	v_add_f64 v[150:151], v[0:1], v[150:151]
	v_fma_f64 v[154:155], v[96:97], s[20:21], v[160:161]
	v_mul_f64 v[156:157], v[100:101], s[50:51]
	v_add_f64 v[38:39], v[112:113], v[38:39]
	v_fma_f64 v[112:113], v[44:45], s[34:35], v[148:149]
	v_mul_f64 v[148:149], v[78:79], s[14:15]
	v_add_f64 v[114:115], v[116:117], v[114:115]
	v_fma_f64 v[116:117], v[50:51], s[20:21], v[122:123]
	v_fma_f64 v[122:123], v[50:51], s[20:21], -v[122:123]
	v_add_f64 v[128:129], v[132:133], v[128:129]
	v_fma_f64 v[132:133], v[52:53], s[6:7], -v[144:145]
	v_add_f64 v[108:109], v[126:127], v[108:109]
	v_add_f64 v[146:147], v[146:147], v[158:159]
	;; [unrolled: 1-line block ×3, first 2 shown]
	v_mul_f64 v[110:111], v[94:95], s[22:23]
	v_add_f64 v[124:125], v[142:143], v[124:125]
	v_fma_f64 v[142:143], v[42:43], s[6:7], v[140:141]
	v_add_f64 v[138:139], v[138:139], v[150:151]
	v_fma_f64 v[150:151], v[40:41], s[6:7], -v[152:153]
	v_fma_f64 v[158:159], v[96:97], s[20:21], -v[160:161]
	v_add_f64 v[38:39], v[112:113], v[38:39]
	v_mul_f64 v[126:127], v[72:73], s[46:47]
	v_fma_f64 v[152:153], v[40:41], s[6:7], v[152:153]
	v_add_f64 v[112:113], v[116:117], v[114:115]
	v_fma_f64 v[114:115], v[46:47], s[12:13], v[148:149]
	v_fma_f64 v[148:149], v[46:47], s[12:13], -v[148:149]
	v_add_f64 v[116:117], v[132:133], v[128:129]
	v_fma_f64 v[128:129], v[48:49], s[20:21], -v[136:137]
	v_fma_f64 v[132:133], v[42:43], s[6:7], -v[140:141]
	v_add_f64 v[140:141], v[2:3], v[154:155]
	v_mul_f64 v[154:155], v[90:91], s[22:23]
	v_fma_f64 v[136:137], v[48:49], s[20:21], v[136:137]
	v_add_f64 v[108:109], v[122:123], v[108:109]
	v_add_f64 v[120:121], v[142:143], v[120:121]
	;; [unrolled: 1-line block ×3, first 2 shown]
	v_fma_f64 v[138:139], v[52:53], s[6:7], v[144:145]
	v_fma_f64 v[142:143], v[66:67], s[18:19], v[110:111]
	v_mul_f64 v[144:145], v[92:93], s[48:49]
	v_add_f64 v[124:125], v[150:151], v[124:125]
	v_fma_f64 v[150:151], v[98:99], s[20:21], -v[156:157]
	v_fma_f64 v[110:111], v[66:67], s[18:19], -v[110:111]
	v_add_f64 v[158:159], v[2:3], v[158:159]
	v_fma_f64 v[156:157], v[98:99], s[20:21], v[156:157]
	v_add_f64 v[112:113], v[114:115], v[112:113]
	v_mul_f64 v[114:115], v[74:75], s[46:47]
	v_add_f64 v[116:117], v[128:129], v[116:117]
	v_fma_f64 v[128:129], v[44:45], s[12:13], -v[130:131]
	v_add_f64 v[132:133], v[132:133], v[146:147]
	v_fma_f64 v[122:123], v[40:41], s[18:19], -v[126:127]
	v_fma_f64 v[130:131], v[44:45], s[12:13], v[130:131]
	v_add_f64 v[152:153], v[152:153], v[38:39]
	v_mul_f64 v[38:39], v[100:101], s[42:43]
	v_mul_f64 v[100:101], v[100:101], s[38:39]
	v_add_f64 v[108:109], v[148:149], v[108:109]
	v_mul_f64 v[148:149], v[94:95], s[36:37]
	v_mul_f64 v[94:95], v[94:95], s[42:43]
	v_fma_f64 v[126:127], v[40:41], s[18:19], v[126:127]
	v_add_f64 v[134:135], v[138:139], v[134:135]
	v_add_f64 v[138:139], v[142:143], v[140:141]
	v_fma_f64 v[140:141], v[64:65], s[0:1], v[144:145]
	v_mul_f64 v[142:143], v[88:89], s[40:41]
	v_add_f64 v[146:147], v[0:1], v[150:151]
	v_fma_f64 v[150:151], v[60:61], s[18:19], -v[154:155]
	v_add_f64 v[110:111], v[110:111], v[158:159]
	v_mul_f64 v[158:159], v[86:87], s[48:49]
	v_fma_f64 v[144:145], v[64:65], s[0:1], -v[144:145]
	v_fma_f64 v[154:155], v[60:61], s[18:19], v[154:155]
	v_add_f64 v[156:157], v[0:1], v[156:157]
	v_add_f64 v[116:117], v[128:129], v[116:117]
	v_fma_f64 v[128:129], v[42:43], s[18:19], v[114:115]
	v_fma_f64 v[114:115], v[42:43], s[18:19], -v[114:115]
	v_add_f64 v[134:135], v[136:137], v[134:135]
	v_add_f64 v[136:137], v[140:141], v[138:139]
	v_fma_f64 v[138:139], v[54:55], s[28:29], v[142:143]
	v_mul_f64 v[140:141], v[84:85], s[26:27]
	v_add_f64 v[146:147], v[150:151], v[146:147]
	v_fma_f64 v[142:143], v[54:55], s[28:29], -v[142:143]
	v_fma_f64 v[150:151], v[56:57], s[0:1], -v[158:159]
	v_add_f64 v[110:111], v[144:145], v[110:111]
	v_mul_f64 v[144:145], v[82:83], s[40:41]
	v_add_f64 v[154:155], v[154:155], v[156:157]
	v_mul_f64 v[156:157], v[102:103], s[42:43]
	v_fma_f64 v[158:159], v[56:57], s[0:1], v[158:159]
	v_mul_f64 v[102:103], v[102:103], s[38:39]
	v_add_f64 v[112:113], v[128:129], v[112:113]
	v_add_f64 v[116:117], v[122:123], v[116:117]
	;; [unrolled: 1-line block ×4, first 2 shown]
	v_mul_f64 v[134:135], v[78:79], s[38:39]
	v_add_f64 v[122:123], v[138:139], v[136:137]
	v_fma_f64 v[128:129], v[50:51], s[16:17], v[140:141]
	v_fma_f64 v[140:141], v[50:51], s[16:17], -v[140:141]
	v_add_f64 v[136:137], v[150:151], v[146:147]
	v_mul_f64 v[146:147], v[80:81], s[26:27]
	v_fma_f64 v[138:139], v[52:53], s[28:29], -v[144:145]
	v_add_f64 v[110:111], v[142:143], v[110:111]
	v_fma_f64 v[142:143], v[96:97], s[16:17], v[156:157]
	v_add_f64 v[150:151], v[158:159], v[154:155]
	v_fma_f64 v[144:145], v[52:53], s[28:29], v[144:145]
	v_fma_f64 v[154:155], v[98:99], s[16:17], -v[38:39]
	v_fma_f64 v[156:157], v[96:97], s[16:17], -v[156:157]
	v_fma_f64 v[38:39], v[98:99], s[16:17], v[38:39]
	v_fma_f64 v[158:159], v[96:97], s[6:7], v[102:103]
	v_fma_f64 v[96:97], v[96:97], s[6:7], -v[102:103]
	v_fma_f64 v[102:103], v[98:99], s[6:7], -v[100:101]
	v_fma_f64 v[98:99], v[98:99], s[6:7], v[100:101]
	v_mul_f64 v[100:101], v[90:91], s[36:37]
	v_mul_f64 v[90:91], v[90:91], s[42:43]
	v_fma_f64 v[114:115], v[46:47], s[6:7], v[134:135]
	v_fma_f64 v[134:135], v[46:47], s[6:7], -v[134:135]
	v_add_f64 v[126:127], v[126:127], v[130:131]
	v_add_f64 v[122:123], v[128:129], v[122:123]
	v_mul_f64 v[130:131], v[62:63], s[22:23]
	v_add_f64 v[128:129], v[138:139], v[136:137]
	v_fma_f64 v[138:139], v[66:67], s[34:35], v[148:149]
	v_add_f64 v[136:137], v[2:3], v[142:143]
	v_mul_f64 v[142:143], v[92:93], s[22:23]
	v_add_f64 v[110:111], v[140:141], v[110:111]
	v_fma_f64 v[140:141], v[48:49], s[16:17], -v[146:147]
	v_add_f64 v[144:145], v[144:145], v[150:151]
	v_add_f64 v[150:151], v[0:1], v[154:155]
	v_fma_f64 v[148:149], v[66:67], s[34:35], -v[148:149]
	v_add_f64 v[154:155], v[2:3], v[156:157]
	v_add_f64 v[38:39], v[0:1], v[38:39]
	;; [unrolled: 1-line block ×3, first 2 shown]
	v_fma_f64 v[156:157], v[60:61], s[34:35], v[100:101]
	v_add_f64 v[102:103], v[0:1], v[102:103]
	v_add_f64 v[2:3], v[2:3], v[96:97]
	;; [unrolled: 1-line block ×3, first 2 shown]
	v_mul_f64 v[96:97], v[86:87], s[22:23]
	v_fma_f64 v[98:99], v[66:67], s[16:17], -v[94:95]
	v_mul_f64 v[92:93], v[92:93], s[50:51]
	v_add_f64 v[114:115], v[114:115], v[122:123]
	v_fma_f64 v[122:123], v[60:61], s[16:17], v[90:91]
	v_mul_f64 v[86:87], v[86:87], s[50:51]
	v_fma_f64 v[100:101], v[60:61], s[34:35], -v[100:101]
	v_fma_f64 v[66:67], v[66:67], s[16:17], v[94:95]
	v_fma_f64 v[60:61], v[60:61], s[16:17], -v[90:91]
	v_fma_f64 v[146:147], v[48:49], s[16:17], v[146:147]
	v_add_f64 v[136:137], v[138:139], v[136:137]
	v_fma_f64 v[138:139], v[64:65], s[18:19], v[142:143]
	v_add_f64 v[128:129], v[140:141], v[128:129]
	v_mul_f64 v[140:141], v[88:89], s[4:5]
	v_fma_f64 v[142:143], v[64:65], s[18:19], -v[142:143]
	v_add_f64 v[148:149], v[148:149], v[154:155]
	v_mul_f64 v[154:155], v[82:83], s[4:5]
	v_mul_f64 v[88:89], v[88:89], s[36:37]
	v_add_f64 v[38:39], v[156:157], v[38:39]
	v_mul_f64 v[82:83], v[82:83], s[36:37]
	v_add_f64 v[110:111], v[134:135], v[110:111]
	v_mul_f64 v[94:95], v[58:59], s[22:23]
	v_fma_f64 v[156:157], v[56:57], s[18:19], v[96:97]
	v_add_f64 v[98:99], v[98:99], v[2:3]
	v_fma_f64 v[160:161], v[64:65], s[20:21], -v[92:93]
	v_add_f64 v[2:3], v[28:29], v[118:119]
	v_add_f64 v[0:1], v[122:123], v[0:1]
	v_fma_f64 v[90:91], v[56:57], s[20:21], v[86:87]
	v_add_f64 v[28:29], v[100:101], v[150:151]
	v_fma_f64 v[96:97], v[56:57], s[18:19], -v[96:97]
	v_fma_f64 v[64:65], v[64:65], s[20:21], v[92:93]
	v_add_f64 v[66:67], v[66:67], v[158:159]
	v_fma_f64 v[56:57], v[56:57], s[20:21], -v[86:87]
	v_add_f64 v[60:61], v[60:61], v[102:103]
	v_add_f64 v[134:135], v[146:147], v[144:145]
	;; [unrolled: 1-line block ×3, first 2 shown]
	v_fma_f64 v[118:119], v[54:55], s[0:1], v[140:141]
	v_add_f64 v[122:123], v[142:143], v[148:149]
	v_mul_f64 v[138:139], v[84:85], s[44:45]
	v_fma_f64 v[140:141], v[54:55], s[0:1], -v[140:141]
	v_fma_f64 v[142:143], v[52:53], s[0:1], v[154:155]
	v_mul_f64 v[144:145], v[80:81], s[44:45]
	v_fma_f64 v[92:93], v[54:55], s[34:35], -v[88:89]
	v_mul_f64 v[84:85], v[84:85], s[30:31]
	v_add_f64 v[38:39], v[156:157], v[38:39]
	v_mul_f64 v[80:81], v[80:81], s[30:31]
	v_add_f64 v[98:99], v[160:161], v[98:99]
	v_fma_f64 v[148:149], v[52:53], s[0:1], -v[154:155]
	v_fma_f64 v[54:55], v[54:55], s[34:35], v[88:89]
	v_add_f64 v[0:1], v[90:91], v[0:1]
	v_fma_f64 v[90:91], v[52:53], s[34:35], v[82:83]
	v_add_f64 v[28:29], v[96:97], v[28:29]
	v_fma_f64 v[52:53], v[52:53], s[34:35], -v[82:83]
	v_add_f64 v[64:65], v[64:65], v[66:67]
	v_mul_f64 v[96:97], v[76:77], s[38:39]
	v_add_f64 v[56:57], v[56:57], v[60:61]
	v_mul_f64 v[88:89], v[76:77], s[40:41]
	v_mul_f64 v[76:77], v[76:77], s[22:23]
	v_add_f64 v[118:119], v[118:119], v[136:137]
	v_mul_f64 v[66:67], v[74:75], s[36:37]
	v_mul_f64 v[86:87], v[62:63], s[26:27]
	v_add_f64 v[122:123], v[140:141], v[122:123]
	v_fma_f64 v[140:141], v[50:51], s[12:13], -v[138:139]
	v_fma_f64 v[136:137], v[48:49], s[12:13], v[144:145]
	v_fma_f64 v[138:139], v[50:51], s[12:13], v[138:139]
	v_fma_f64 v[144:145], v[48:49], s[12:13], -v[144:145]
	v_add_f64 v[38:39], v[142:143], v[38:39]
	v_mul_f64 v[142:143], v[78:79], s[40:41]
	v_add_f64 v[92:93], v[92:93], v[98:99]
	v_fma_f64 v[98:99], v[50:51], s[28:29], -v[84:85]
	v_mul_f64 v[78:79], v[78:79], s[22:23]
	v_fma_f64 v[50:51], v[50:51], s[28:29], v[84:85]
	v_add_f64 v[0:1], v[90:91], v[0:1]
	v_fma_f64 v[90:91], v[48:49], s[28:29], v[80:81]
	v_add_f64 v[28:29], v[148:149], v[28:29]
	v_add_f64 v[54:55], v[54:55], v[64:65]
	v_fma_f64 v[48:49], v[48:49], s[28:29], -v[80:81]
	v_add_f64 v[52:53], v[52:53], v[56:57]
	v_fma_f64 v[148:149], v[44:45], s[6:7], v[96:97]
	v_mul_f64 v[80:81], v[72:73], s[24:25]
	v_fma_f64 v[84:85], v[44:45], s[28:29], v[88:89]
	v_fma_f64 v[96:97], v[44:45], s[6:7], -v[96:97]
	v_fma_f64 v[64:65], v[42:43], s[34:35], v[66:67]
	v_fma_f64 v[66:67], v[42:43], s[34:35], -v[66:67]
	v_add_f64 v[122:123], v[140:141], v[122:123]
	v_mul_f64 v[140:141], v[72:73], s[36:37]
	v_mul_f64 v[72:73], v[72:73], s[14:15]
	v_add_f64 v[118:119], v[138:139], v[118:119]
	v_add_f64 v[38:39], v[136:137], v[38:39]
	v_mul_f64 v[136:137], v[74:75], s[24:25]
	v_mul_f64 v[74:75], v[74:75], s[14:15]
	v_add_f64 v[92:93], v[98:99], v[92:93]
	v_fma_f64 v[56:57], v[46:47], s[18:19], -v[78:79]
	v_fma_f64 v[98:99], v[46:47], s[28:29], -v[142:143]
	v_fma_f64 v[142:143], v[46:47], s[28:29], v[142:143]
	v_add_f64 v[0:1], v[90:91], v[0:1]
	v_fma_f64 v[90:91], v[44:45], s[18:19], v[76:77]
	v_add_f64 v[28:29], v[144:145], v[28:29]
	v_fma_f64 v[88:89], v[44:45], s[28:29], -v[88:89]
	v_fma_f64 v[46:47], v[46:47], s[18:19], v[78:79]
	v_add_f64 v[50:51], v[50:51], v[54:55]
	v_fma_f64 v[44:45], v[44:45], s[18:19], -v[76:77]
	v_add_f64 v[48:49], v[48:49], v[52:53]
	v_add_f64 v[134:135], v[148:149], v[134:135]
	v_mul_f64 v[148:149], v[62:63], s[14:15]
	v_mul_f64 v[144:145], v[62:63], s[10:11]
	;; [unrolled: 1-line block ×4, first 2 shown]
	v_fma_f64 v[76:77], v[40:41], s[12:13], v[72:73]
	v_fma_f64 v[52:53], v[40:41], s[20:21], v[80:81]
	v_add_f64 v[38:39], v[84:85], v[38:39]
	v_mul_f64 v[84:85], v[58:59], s[10:11]
	v_mul_f64 v[102:103], v[58:59], s[26:27]
	v_fma_f64 v[138:139], v[40:41], s[34:35], v[140:141]
	v_add_f64 v[54:55], v[56:57], v[92:93]
	v_fma_f64 v[56:57], v[42:43], s[12:13], -v[74:75]
	v_add_f64 v[98:99], v[98:99], v[122:123]
	v_fma_f64 v[122:123], v[42:43], s[20:21], -v[136:137]
	v_add_f64 v[0:1], v[90:91], v[0:1]
	v_mul_f64 v[58:59], v[58:59], s[14:15]
	v_add_f64 v[90:91], v[96:97], v[128:129]
	v_fma_f64 v[92:93], v[40:41], s[34:35], -v[140:141]
	v_add_f64 v[66:67], v[66:67], v[110:111]
	v_add_f64 v[96:97], v[142:143], v[118:119]
	v_fma_f64 v[110:111], v[42:43], s[20:21], v[136:137]
	v_add_f64 v[28:29], v[88:89], v[28:29]
	v_fma_f64 v[80:81], v[40:41], s[20:21], -v[80:81]
	v_fma_f64 v[42:43], v[42:43], s[12:13], v[74:75]
	v_add_f64 v[46:47], v[46:47], v[50:51]
	v_fma_f64 v[40:41], v[40:41], s[12:13], -v[72:73]
	v_add_f64 v[44:45], v[44:45], v[48:49]
	v_fma_f64 v[72:73], v[34:35], s[0:1], -v[62:63]
	v_fma_f64 v[74:75], v[32:33], s[0:1], v[78:79]
	v_add_f64 v[50:51], v[52:53], v[38:39]
	v_fma_f64 v[52:53], v[34:35], s[6:7], -v[144:145]
	v_add_f64 v[88:89], v[138:139], v[134:135]
	v_fma_f64 v[118:119], v[34:35], s[12:13], -v[148:149]
	v_add_f64 v[54:55], v[56:57], v[54:55]
	v_fma_f64 v[82:83], v[34:35], s[16:17], v[86:87]
	v_add_f64 v[48:49], v[122:123], v[98:99]
	v_add_f64 v[56:57], v[76:77], v[0:1]
	v_fma_f64 v[76:77], v[32:33], s[6:7], v[84:85]
	v_fma_f64 v[98:99], v[32:33], s[12:13], v[58:59]
	v_fma_f64 v[60:61], v[32:33], s[16:17], -v[102:103]
	v_fma_f64 v[86:87], v[34:35], s[16:17], -v[86:87]
	v_fma_f64 v[102:103], v[32:33], s[16:17], v[102:103]
	v_fma_f64 v[100:101], v[34:35], s[18:19], v[130:131]
	v_fma_f64 v[146:147], v[32:33], s[18:19], -v[94:95]
	v_fma_f64 v[130:131], v[34:35], s[18:19], -v[130:131]
	v_fma_f64 v[94:95], v[32:33], s[18:19], v[94:95]
	v_add_f64 v[64:65], v[64:65], v[114:115]
	v_add_f64 v[90:91], v[92:93], v[90:91]
	v_fma_f64 v[92:93], v[34:35], s[12:13], v[148:149]
	v_fma_f64 v[114:115], v[32:33], s[12:13], -v[58:59]
	v_add_f64 v[96:97], v[110:111], v[96:97]
	v_add_f64 v[80:81], v[80:81], v[28:29]
	v_fma_f64 v[110:111], v[34:35], s[6:7], v[144:145]
	v_fma_f64 v[84:85], v[32:33], s[6:7], -v[84:85]
	v_fma_f64 v[122:123], v[34:35], s[0:1], v[62:63]
	v_add_f64 v[128:129], v[42:43], v[46:47]
	v_fma_f64 v[78:79], v[32:33], s[0:1], -v[78:79]
	v_add_f64 v[134:135], v[40:41], v[44:45]
	v_add_f64 v[46:47], v[72:73], v[54:55]
	;; [unrolled: 1-line block ×14, first 2 shown]
	v_mul_u32_u24_e32 v72, 0x110, v68
	v_add_f64 v[54:55], v[82:83], v[112:113]
	v_add_f64 v[52:53], v[60:61], v[116:117]
	;; [unrolled: 1-line block ×8, first 2 shown]
	v_add3_u32 v72, 0, v72, v107
	ds_write_b128 v72, v[4:7]
	ds_write_b128 v72, v[44:47] offset:16
	ds_write_b128 v72, v[40:43] offset:32
	;; [unrolled: 1-line block ×16, first 2 shown]
.LBB0_12:
	s_or_b32 exec_lo, exec_lo, s33
	v_add_nc_u16 v2, v68, 34
	v_add_nc_u16 v3, v68, 0x44
	v_subrev_nc_u32_e32 v4, 17, v68
	v_cmp_gt_u32_e64 s0, 17, v68
	v_mov_b32_e32 v33, 4
	v_and_b32_e32 v0, 0xff, v2
	v_and_b32_e32 v1, 0xff, v3
	v_add_nc_u16 v15, v68, 0x66
	v_cndmask_b32_e64 v8, v4, v68, s0
	v_add_nc_u16 v16, v68, 0x88
	v_mul_lo_u16 v0, 0xf1, v0
	v_mul_lo_u16 v1, 0xf1, v1
	v_add_nc_u16 v17, v68, 0xaa
	v_add_nc_u16 v21, v68, 0xcc
	v_add_nc_u32_e32 v14, 0xee, v68
	v_lshrrev_b16 v10, 12, v0
	v_lshrrev_b16 v11, 12, v1
	v_and_b32_e32 v18, 0xff, v17
	v_and_b32_e32 v22, 0xff, v21
	v_mov_b32_e32 v9, 0
	v_mul_lo_u16 v4, v10, 17
	v_mul_lo_u16 v5, v11, 17
	;; [unrolled: 1-line block ×3, first 2 shown]
	s_waitcnt lgkmcnt(0)
	v_lshlrev_b64 v[0:1], 4, v[8:9]
	v_sub_nc_u16 v2, v2, v4
	v_sub_nc_u16 v3, v3, v5
	v_and_b32_e32 v5, 0xff, v16
	v_mov_b32_e32 v4, 0xf0f1
	s_barrier
	v_lshlrev_b32_sdwa v12, v33, v2 dst_sel:DWORD dst_unused:UNUSED_PAD src0_sel:DWORD src1_sel:BYTE_0
	v_and_b32_e32 v2, 0xff, v15
	v_mul_lo_u16 v23, 0xf1, v5
	v_mul_u32_u24_sdwa v19, v14, v4 dst_sel:DWORD dst_unused:UNUSED_PAD src0_sel:WORD_0 src1_sel:DWORD
	v_add_co_u32 v0, s0, s8, v0
	v_mul_lo_u16 v20, 0xf1, v2
	v_lshrrev_b16 v18, 12, v23
	v_lshrrev_b32_e32 v134, 20, v19
	v_lshrrev_b16 v19, 12, v24
	v_add_co_ci_u32_e64 v1, s0, s9, v1, s0
	v_lshrrev_b16 v67, 12, v20
	v_mul_lo_u16 v20, 0xf1, v22
	v_mul_lo_u16 v23, v18, 17
	;; [unrolled: 1-line block ×5, first 2 shown]
	v_lshrrev_b16 v20, 12, v20
	v_sub_nc_u16 v16, v16, v23
	v_lshlrev_b32_sdwa v13, v33, v3 dst_sel:DWORD dst_unused:UNUSED_PAD src0_sel:DWORD src1_sel:BYTE_0
	v_sub_nc_u16 v34, v14, v24
	v_sub_nc_u16 v15, v15, v22
	v_mul_lo_u16 v22, v20, 17
	buffer_gl0_inv
	s_clause 0x1
	global_load_dwordx4 v[4:7], v[0:1], off
	global_load_dwordx4 v[0:3], v12, s[8:9]
	v_sub_nc_u16 v17, v17, v25
	v_lshlrev_b32_sdwa v14, v33, v15 dst_sel:DWORD dst_unused:UNUSED_PAD src0_sel:DWORD src1_sel:BYTE_0
	v_sub_nc_u16 v29, v21, v22
	v_lshlrev_b32_sdwa v15, v33, v16 dst_sel:DWORD dst_unused:UNUSED_PAD src0_sel:DWORD src1_sel:BYTE_0
	global_load_dwordx4 v[21:24], v13, s[8:9]
	v_lshlrev_b32_sdwa v16, v33, v17 dst_sel:DWORD dst_unused:UNUSED_PAD src0_sel:DWORD src1_sel:BYTE_0
	global_load_dwordx4 v[25:28], v14, s[8:9]
	;; [unrolled: 2-line block ×3, first 2 shown]
	v_lshlrev_b32_sdwa v135, v33, v34 dst_sel:DWORD dst_unused:UNUSED_PAD src0_sel:DWORD src1_sel:WORD_0
	s_clause 0x2
	global_load_dwordx4 v[33:36], v16, s[8:9]
	global_load_dwordx4 v[37:40], v17, s[8:9]
	;; [unrolled: 1-line block ×3, first 2 shown]
	ds_read_b128 v[45:48], v106 offset:4352
	ds_read_b128 v[49:52], v106 offset:4896
	ds_read_b128 v[53:56], v104
	ds_read_b128 v[57:60], v106 offset:544
	ds_read_b128 v[61:64], v106 offset:5440
	;; [unrolled: 1-line block ×7, first 2 shown]
	v_cmp_lt_u32_e64 s0, 16, v68
	v_lshlrev_b32_e32 v8, 4, v8
	v_and_b32_e32 v138, 0xffff, v11
	ds_read_b128 v[92:95], v106 offset:1088
	ds_read_b128 v[96:99], v106 offset:1632
	;; [unrolled: 1-line block ×6, first 2 shown]
	v_cndmask_b32_e64 v65, 0, 0x220, s0
	v_and_b32_e32 v67, 0xffff, v67
	v_mul_u32_u24_e32 v136, 15, v68
	v_mad_u32_u24 v134, 0x220, v134, 0
	s_waitcnt vmcnt(0) lgkmcnt(0)
	v_add_nc_u32_e32 v137, 0, v65
	v_mad_u32_u24 v67, 0x220, v67, 0
	v_lshlrev_b32_e32 v136, 4, v136
	s_barrier
	buffer_gl0_inv
	v_add3_u32 v8, v137, v8, v107
	v_and_b32_e32 v137, 0xffff, v10
	v_add3_u32 v14, v67, v14, v107
	s_mov_b32 s0, 0x667f3bcd
	s_mov_b32 s1, 0xbfe6a09e
	;; [unrolled: 1-line block ×12, first 2 shown]
	v_mul_f64 v[65:66], v[47:48], v[6:7]
	v_mul_f64 v[6:7], v[45:46], v[6:7]
	;; [unrolled: 1-line block ×16, first 2 shown]
	v_fma_f64 v[10:11], v[45:46], v[4:5], v[65:66]
	v_fma_f64 v[4:5], v[47:48], v[4:5], -v[6:7]
	v_fma_f64 v[6:7], v[49:50], v[0:1], v[120:121]
	v_fma_f64 v[45:46], v[51:52], v[0:1], -v[2:3]
	v_and_b32_e32 v49, 0xffff, v20
	v_mad_u32_u24 v66, 0x220, v137, 0
	v_fma_f64 v[47:48], v[61:62], v[21:22], v[122:123]
	v_fma_f64 v[21:22], v[63:64], v[21:22], -v[23:24]
	v_fma_f64 v[23:24], v[72:73], v[25:26], v[124:125]
	v_fma_f64 v[25:26], v[74:75], v[25:26], -v[27:28]
	;; [unrolled: 2-line block ×6, first 2 shown]
	v_and_b32_e32 v43, 0xffff, v18
	v_and_b32_e32 v44, 0xffff, v19
	v_mad_u32_u24 v81, 0x220, v49, 0
	v_mad_u32_u24 v80, 0x220, v138, 0
	v_add_f64 v[0:1], v[53:54], -v[10:11]
	v_add_f64 v[2:3], v[55:56], -v[4:5]
	;; [unrolled: 1-line block ×4, first 2 shown]
	v_mad_u32_u24 v10, 0x220, v43, 0
	v_mad_u32_u24 v11, 0x220, v44, 0
	v_add_f64 v[18:19], v[92:93], -v[47:48]
	v_add_f64 v[20:21], v[94:95], -v[21:22]
	;; [unrolled: 1-line block ×12, first 2 shown]
	v_add3_u32 v12, v66, v12, v107
	v_add3_u32 v13, v80, v13, v107
	;; [unrolled: 1-line block ×4, first 2 shown]
	v_fma_f64 v[42:43], v[53:54], 2.0, -v[0:1]
	v_fma_f64 v[44:45], v[55:56], 2.0, -v[2:3]
	;; [unrolled: 1-line block ×4, first 2 shown]
	v_add3_u32 v15, v81, v17, v107
	v_add3_u32 v82, v134, v135, v107
	v_fma_f64 v[50:51], v[92:93], 2.0, -v[18:19]
	v_fma_f64 v[52:53], v[94:95], 2.0, -v[20:21]
	;; [unrolled: 1-line block ×12, first 2 shown]
	ds_write_b128 v8, v[0:3] offset:272
	ds_write_b128 v8, v[42:45]
	ds_write_b128 v12, v[4:7] offset:272
	ds_write_b128 v12, v[46:49]
	ds_write_b128 v13, v[50:53]
	ds_write_b128 v13, v[18:21] offset:272
	ds_write_b128 v14, v[54:57]
	ds_write_b128 v14, v[22:25] offset:272
	;; [unrolled: 2-line block ×6, first 2 shown]
	s_waitcnt lgkmcnt(0)
	s_barrier
	buffer_gl0_inv
	s_clause 0xe
	global_load_dwordx4 v[0:3], v136, s[8:9] offset:272
	global_load_dwordx4 v[4:7], v136, s[8:9] offset:288
	global_load_dwordx4 v[10:13], v136, s[8:9] offset:304
	global_load_dwordx4 v[14:17], v136, s[8:9] offset:320
	global_load_dwordx4 v[18:21], v136, s[8:9] offset:336
	global_load_dwordx4 v[22:25], v136, s[8:9] offset:352
	global_load_dwordx4 v[26:29], v136, s[8:9] offset:368
	global_load_dwordx4 v[30:33], v136, s[8:9] offset:384
	global_load_dwordx4 v[34:37], v136, s[8:9] offset:400
	global_load_dwordx4 v[38:41], v136, s[8:9] offset:416
	global_load_dwordx4 v[42:45], v136, s[8:9] offset:448
	global_load_dwordx4 v[46:49], v136, s[8:9] offset:480
	global_load_dwordx4 v[50:53], v136, s[8:9] offset:464
	global_load_dwordx4 v[54:57], v136, s[8:9] offset:432
	global_load_dwordx4 v[58:61], v136, s[8:9] offset:496
	ds_read_b128 v[62:65], v106 offset:544
	ds_read_b128 v[72:75], v106 offset:1088
	;; [unrolled: 1-line block ×15, first 2 shown]
	ds_read_b128 v[131:134], v104
	s_waitcnt vmcnt(0) lgkmcnt(0)
	s_barrier
	buffer_gl0_inv
	v_sub_nc_u32_e32 v8, v69, v105
	v_mul_f64 v[66:67], v[64:65], v[2:3]
	v_mul_f64 v[2:3], v[62:63], v[2:3]
	;; [unrolled: 1-line block ×28, first 2 shown]
	v_fma_f64 v[62:63], v[62:63], v[0:1], v[66:67]
	v_fma_f64 v[0:1], v[64:65], v[0:1], -v[2:3]
	v_mul_f64 v[2:3], v[127:128], v[60:61]
	v_mul_f64 v[60:61], v[129:130], v[60:61]
	v_fma_f64 v[64:65], v[72:73], v[4:5], v[135:136]
	v_fma_f64 v[4:5], v[74:75], v[4:5], -v[6:7]
	v_fma_f64 v[6:7], v[76:77], v[10:11], v[137:138]
	v_fma_f64 v[10:11], v[78:79], v[10:11], -v[12:13]
	v_fma_f64 v[12:13], v[80:81], v[14:15], v[139:140]
	v_fma_f64 v[14:15], v[82:83], v[14:15], -v[16:17]
	v_fma_f64 v[16:17], v[84:85], v[18:19], v[141:142]
	v_fma_f64 v[18:19], v[86:87], v[18:19], -v[20:21]
	v_fma_f64 v[20:21], v[88:89], v[22:23], v[143:144]
	v_fma_f64 v[22:23], v[90:91], v[22:23], -v[24:25]
	v_fma_f64 v[24:25], v[92:93], v[26:27], v[145:146]
	v_fma_f64 v[26:27], v[94:95], v[26:27], -v[28:29]
	v_fma_f64 v[28:29], v[96:97], v[30:31], v[147:148]
	v_fma_f64 v[30:31], v[98:99], v[30:31], -v[32:33]
	v_fma_f64 v[32:33], v[115:116], v[42:43], v[153:154]
	v_fma_f64 v[42:43], v[117:118], v[42:43], -v[44:45]
	v_fma_f64 v[44:45], v[107:108], v[38:39], v[151:152]
	v_fma_f64 v[38:39], v[109:110], v[38:39], -v[40:41]
	v_fma_f64 v[40:41], v[123:124], v[46:47], v[155:156]
	v_fma_f64 v[46:47], v[125:126], v[46:47], -v[48:49]
	v_fma_f64 v[48:49], v[100:101], v[34:35], v[149:150]
	v_fma_f64 v[34:35], v[102:103], v[34:35], -v[36:37]
	v_fma_f64 v[36:37], v[119:120], v[50:51], v[157:158]
	v_fma_f64 v[50:51], v[121:122], v[50:51], -v[52:53]
	v_fma_f64 v[52:53], v[111:112], v[54:55], v[159:160]
	v_fma_f64 v[54:55], v[113:114], v[54:55], -v[56:57]
	v_fma_f64 v[2:3], v[129:130], v[58:59], -v[2:3]
	v_fma_f64 v[56:57], v[127:128], v[58:59], v[60:61]
	v_add_f64 v[28:29], v[131:132], -v[28:29]
	v_add_f64 v[30:31], v[133:134], -v[30:31]
	v_add_f64 v[32:33], v[12:13], -v[32:33]
	v_add_f64 v[42:43], v[14:15], -v[42:43]
	v_add_f64 v[44:45], v[64:65], -v[44:45]
	v_add_f64 v[38:39], v[4:5], -v[38:39]
	v_add_f64 v[40:41], v[20:21], -v[40:41]
	v_add_f64 v[46:47], v[22:23], -v[46:47]
	v_add_f64 v[48:49], v[62:63], -v[48:49]
	v_add_f64 v[34:35], v[0:1], -v[34:35]
	v_add_f64 v[36:37], v[16:17], -v[36:37]
	v_add_f64 v[50:51], v[18:19], -v[50:51]
	v_add_f64 v[52:53], v[6:7], -v[52:53]
	v_add_f64 v[54:55], v[10:11], -v[54:55]
	v_add_f64 v[2:3], v[26:27], -v[2:3]
	v_add_f64 v[56:57], v[24:25], -v[56:57]
	v_fma_f64 v[58:59], v[131:132], 2.0, -v[28:29]
	v_fma_f64 v[60:61], v[133:134], 2.0, -v[30:31]
	;; [unrolled: 1-line block ×3, first 2 shown]
	v_add_f64 v[66:67], v[28:29], v[42:43]
	v_add_f64 v[32:33], v[30:31], -v[32:33]
	v_fma_f64 v[14:15], v[14:15], 2.0, -v[42:43]
	v_add_f64 v[74:75], v[38:39], -v[40:41]
	v_add_f64 v[72:73], v[44:45], v[46:47]
	v_fma_f64 v[42:43], v[64:65], 2.0, -v[44:45]
	v_fma_f64 v[4:5], v[4:5], 2.0, -v[38:39]
	v_add_f64 v[78:79], v[34:35], -v[36:37]
	v_add_f64 v[76:77], v[48:49], v[50:51]
	v_fma_f64 v[20:21], v[20:21], 2.0, -v[40:41]
	v_fma_f64 v[22:23], v[22:23], 2.0, -v[46:47]
	v_add_f64 v[80:81], v[52:53], v[2:3]
	v_add_f64 v[82:83], v[54:55], -v[56:57]
	v_fma_f64 v[40:41], v[62:63], 2.0, -v[48:49]
	v_fma_f64 v[0:1], v[0:1], 2.0, -v[34:35]
	;; [unrolled: 1-line block ×8, first 2 shown]
	v_add_f64 v[12:13], v[58:59], -v[12:13]
	v_fma_f64 v[26:27], v[28:29], 2.0, -v[66:67]
	v_fma_f64 v[28:29], v[30:31], 2.0, -v[32:33]
	v_add_f64 v[14:15], v[60:61], -v[14:15]
	v_fma_f64 v[36:37], v[38:39], 2.0, -v[74:75]
	v_fma_f64 v[30:31], v[44:45], 2.0, -v[72:73]
	v_fma_f64 v[50:51], v[74:75], s[4:5], v[32:33]
	v_fma_f64 v[34:35], v[34:35], 2.0, -v[78:79]
	v_fma_f64 v[38:39], v[48:49], 2.0, -v[76:77]
	v_add_f64 v[20:21], v[42:43], -v[20:21]
	v_add_f64 v[22:23], v[4:5], -v[22:23]
	v_fma_f64 v[44:45], v[52:53], 2.0, -v[80:81]
	v_fma_f64 v[46:47], v[54:55], 2.0, -v[82:83]
	v_fma_f64 v[48:49], v[72:73], s[4:5], v[66:67]
	v_fma_f64 v[52:53], v[80:81], s[4:5], v[76:77]
	v_add_f64 v[16:17], v[40:41], -v[16:17]
	v_add_f64 v[18:19], v[0:1], -v[18:19]
	v_fma_f64 v[54:55], v[82:83], s[4:5], v[78:79]
	v_add_f64 v[24:25], v[6:7], -v[24:25]
	v_add_f64 v[2:3], v[10:11], -v[2:3]
	v_fma_f64 v[58:59], v[58:59], 2.0, -v[12:13]
	v_fma_f64 v[60:61], v[60:61], 2.0, -v[14:15]
	v_fma_f64 v[62:63], v[36:37], s[0:1], v[28:29]
	v_fma_f64 v[56:57], v[30:31], s[0:1], v[26:27]
	;; [unrolled: 1-line block ×3, first 2 shown]
	v_fma_f64 v[42:43], v[42:43], 2.0, -v[20:21]
	v_fma_f64 v[4:5], v[4:5], 2.0, -v[22:23]
	v_fma_f64 v[64:65], v[44:45], s[0:1], v[38:39]
	v_fma_f64 v[84:85], v[46:47], s[0:1], v[34:35]
	v_add_f64 v[86:87], v[12:13], v[22:23]
	v_add_f64 v[88:89], v[14:15], -v[20:21]
	v_fma_f64 v[40:41], v[40:41], 2.0, -v[16:17]
	v_fma_f64 v[0:1], v[0:1], 2.0, -v[18:19]
	v_fma_f64 v[48:49], v[74:75], s[4:5], v[48:49]
	v_fma_f64 v[6:7], v[6:7], 2.0, -v[24:25]
	v_fma_f64 v[10:11], v[10:11], 2.0, -v[2:3]
	v_add_f64 v[20:21], v[16:17], v[2:3]
	v_add_f64 v[22:23], v[18:19], -v[24:25]
	v_fma_f64 v[24:25], v[82:83], s[4:5], v[52:53]
	v_fma_f64 v[52:53], v[80:81], s[0:1], v[54:55]
	;; [unrolled: 1-line block ×4, first 2 shown]
	v_add_f64 v[42:43], v[58:59], -v[42:43]
	v_fma_f64 v[30:31], v[46:47], s[4:5], v[64:65]
	v_fma_f64 v[36:37], v[44:45], s[0:1], v[84:85]
	v_add_f64 v[44:45], v[60:61], -v[4:5]
	v_fma_f64 v[54:55], v[12:13], 2.0, -v[86:87]
	v_fma_f64 v[56:57], v[14:15], 2.0, -v[88:89]
	;; [unrolled: 1-line block ×4, first 2 shown]
	v_add_f64 v[2:3], v[40:41], -v[6:7]
	v_add_f64 v[4:5], v[0:1], -v[10:11]
	v_fma_f64 v[32:33], v[16:17], 2.0, -v[20:21]
	v_fma_f64 v[18:19], v[18:19], 2.0, -v[22:23]
	;; [unrolled: 1-line block ×6, first 2 shown]
	v_fma_f64 v[6:7], v[20:21], s[4:5], v[86:87]
	v_fma_f64 v[10:11], v[22:23], s[4:5], v[88:89]
	;; [unrolled: 1-line block ×4, first 2 shown]
	v_fma_f64 v[58:59], v[58:59], 2.0, -v[42:43]
	v_fma_f64 v[38:39], v[38:39], 2.0, -v[30:31]
	;; [unrolled: 1-line block ×4, first 2 shown]
	v_fma_f64 v[84:85], v[30:31], s[10:11], v[72:73]
	v_fma_f64 v[90:91], v[36:37], s[10:11], v[62:63]
	v_fma_f64 v[16:17], v[40:41], 2.0, -v[2:3]
	v_fma_f64 v[26:27], v[0:1], 2.0, -v[4:5]
	v_fma_f64 v[28:29], v[32:33], s[0:1], v[54:55]
	v_fma_f64 v[40:41], v[18:19], s[0:1], v[56:57]
	;; [unrolled: 1-line block ×4, first 2 shown]
	v_add_f64 v[0:1], v[42:43], v[4:5]
	v_add_f64 v[2:3], v[44:45], -v[2:3]
	v_fma_f64 v[4:5], v[22:23], s[4:5], v[6:7]
	v_fma_f64 v[6:7], v[20:21], s[0:1], v[10:11]
	;; [unrolled: 1-line block ×6, first 2 shown]
	v_add_f64 v[14:15], v[58:59], -v[16:17]
	v_add_f64 v[16:17], v[60:61], -v[26:27]
	v_fma_f64 v[18:19], v[18:19], s[4:5], v[28:29]
	v_fma_f64 v[20:21], v[32:33], s[0:1], v[40:41]
	;; [unrolled: 1-line block ×6, first 2 shown]
	v_fma_f64 v[36:37], v[44:45], 2.0, -v[2:3]
	v_fma_f64 v[40:41], v[88:89], 2.0, -v[6:7]
	s_add_u32 s1, s8, 0x20f0
	v_fma_f64 v[44:45], v[50:51], 2.0, -v[12:13]
	s_addc_u32 s4, s9, 0
	s_mov_b32 s5, exec_lo
	v_fma_f64 v[30:31], v[34:35], s[10:11], v[92:93]
	v_fma_f64 v[32:33], v[38:39], s[12:13], v[94:95]
	v_fma_f64 v[34:35], v[42:43], 2.0, -v[0:1]
	v_fma_f64 v[38:39], v[86:87], 2.0, -v[4:5]
	;; [unrolled: 1-line block ×13, first 2 shown]
	ds_write_b128 v106, v[0:3] offset:6528
	ds_write_b128 v106, v[4:7] offset:7616
	;; [unrolled: 1-line block ×10, first 2 shown]
	ds_write_b128 v106, v[46:49]
	ds_write_b128 v106, v[50:53] offset:1088
	ds_write_b128 v106, v[54:57] offset:1632
	;; [unrolled: 1-line block ×5, first 2 shown]
	s_waitcnt lgkmcnt(0)
	s_barrier
	buffer_gl0_inv
	ds_read_b128 v[0:3], v104
                                        ; implicit-def: $vgpr6_vgpr7
                                        ; implicit-def: $vgpr4_vgpr5
                                        ; implicit-def: $vgpr10_vgpr11
	v_cmpx_ne_u32_e32 0, v68
	s_xor_b32 s5, exec_lo, s5
	s_cbranch_execz .LBB0_14
; %bb.13:
	v_mov_b32_e32 v69, v9
	v_lshlrev_b64 v[4:5], 4, v[68:69]
	v_add_co_u32 v4, s0, s1, v4
	v_add_co_ci_u32_e64 v5, s0, s4, v5, s0
	global_load_dwordx4 v[9:12], v[4:5], off
	ds_read_b128 v[4:7], v8 offset:8704
	s_waitcnt lgkmcnt(0)
	v_add_f64 v[13:14], v[0:1], -v[4:5]
	v_add_f64 v[15:16], v[2:3], v[6:7]
	v_add_f64 v[2:3], v[2:3], -v[6:7]
	v_add_f64 v[0:1], v[0:1], v[4:5]
	v_mul_f64 v[6:7], v[13:14], 0.5
	v_mul_f64 v[13:14], v[15:16], 0.5
	;; [unrolled: 1-line block ×3, first 2 shown]
	s_waitcnt vmcnt(0)
	v_mul_f64 v[4:5], v[6:7], v[11:12]
	v_fma_f64 v[15:16], v[13:14], v[11:12], v[2:3]
	v_fma_f64 v[2:3], v[13:14], v[11:12], -v[2:3]
	v_fma_f64 v[11:12], v[0:1], 0.5, v[4:5]
	v_fma_f64 v[0:1], v[0:1], 0.5, -v[4:5]
	v_fma_f64 v[15:16], -v[9:10], v[6:7], v[15:16]
	v_fma_f64 v[2:3], -v[9:10], v[6:7], v[2:3]
	ds_write_b64 v104, v[15:16] offset:8
	ds_write_b64 v8, v[2:3] offset:8712
	v_fma_f64 v[4:5], v[13:14], v[9:10], v[11:12]
	v_fma_f64 v[6:7], -v[13:14], v[9:10], v[0:1]
	v_mov_b32_e32 v10, v68
	v_mov_b32_e32 v11, v69
                                        ; implicit-def: $vgpr0_vgpr1
                                        ; implicit-def: $vgpr69
.LBB0_14:
	s_andn2_saveexec_b32 s0, s5
	s_cbranch_execz .LBB0_16
; %bb.15:
	s_mov_b32 s6, 0
	s_waitcnt lgkmcnt(0)
	v_add_f64 v[6:7], v[0:1], -v[2:3]
	s_mov_b32 s7, s6
	v_mov_b32_e32 v4, s6
	v_mov_b32_e32 v5, s7
	;; [unrolled: 1-line block ×4, first 2 shown]
	ds_write_b64 v104, v[4:5] offset:8
	ds_write_b64 v8, v[4:5] offset:8712
	ds_read_b64 v[12:13], v69 offset:4360
	v_add_f64 v[4:5], v[0:1], v[2:3]
	s_waitcnt lgkmcnt(0)
	v_xor_b32_e32 v13, 0x80000000, v13
	ds_write_b64 v69, v[12:13] offset:4360
.LBB0_16:
	s_or_b32 exec_lo, exec_lo, s0
	s_waitcnt lgkmcnt(0)
	v_lshlrev_b64 v[0:1], 4, v[10:11]
	v_add_co_u32 v25, s0, s1, v0
	v_add_co_ci_u32_e64 v26, s0, s4, v1, s0
	s_clause 0x1
	global_load_dwordx4 v[9:12], v[25:26], off offset:544
	global_load_dwordx4 v[13:16], v[25:26], off offset:1088
	ds_write_b64 v104, v[4:5]
	ds_write_b64 v8, v[6:7] offset:8704
	ds_read_b128 v[2:5], v104 offset:544
	ds_read_b128 v[17:20], v8 offset:8160
	global_load_dwordx4 v[21:24], v[25:26], off offset:1632
	s_waitcnt lgkmcnt(0)
	v_add_f64 v[6:7], v[2:3], -v[17:18]
	v_add_f64 v[27:28], v[4:5], v[19:20]
	v_add_f64 v[4:5], v[4:5], -v[19:20]
	v_add_f64 v[2:3], v[2:3], v[17:18]
	v_mul_f64 v[6:7], v[6:7], 0.5
	v_mul_f64 v[19:20], v[27:28], 0.5
	;; [unrolled: 1-line block ×3, first 2 shown]
	s_waitcnt vmcnt(2)
	v_mul_f64 v[17:18], v[6:7], v[11:12]
	v_fma_f64 v[27:28], v[19:20], v[11:12], v[4:5]
	v_fma_f64 v[4:5], v[19:20], v[11:12], -v[4:5]
	v_fma_f64 v[11:12], v[2:3], 0.5, v[17:18]
	v_fma_f64 v[2:3], v[2:3], 0.5, -v[17:18]
	v_fma_f64 v[17:18], -v[9:10], v[6:7], v[27:28]
	v_fma_f64 v[4:5], -v[9:10], v[6:7], v[4:5]
	v_fma_f64 v[6:7], v[19:20], v[9:10], v[11:12]
	v_fma_f64 v[2:3], -v[19:20], v[9:10], v[2:3]
	ds_write2_b64 v104, v[6:7], v[17:18] offset0:68 offset1:69
	ds_write_b128 v8, v[2:5] offset:8160
	v_add_co_u32 v6, s0, 0x800, v25
	ds_read_b128 v[2:5], v104 offset:1088
	ds_read_b128 v[9:12], v8 offset:7616
	v_add_co_ci_u32_e64 v7, s0, 0, v26, s0
	global_load_dwordx4 v[17:20], v[6:7], off offset:128
	s_waitcnt lgkmcnt(0)
	v_add_f64 v[25:26], v[2:3], -v[9:10]
	v_add_f64 v[27:28], v[4:5], v[11:12]
	v_add_f64 v[4:5], v[4:5], -v[11:12]
	v_add_f64 v[2:3], v[2:3], v[9:10]
	v_mul_f64 v[11:12], v[25:26], 0.5
	v_mul_f64 v[25:26], v[27:28], 0.5
	;; [unrolled: 1-line block ×3, first 2 shown]
	s_waitcnt vmcnt(2)
	v_mul_f64 v[9:10], v[11:12], v[15:16]
	v_fma_f64 v[27:28], v[25:26], v[15:16], v[4:5]
	v_fma_f64 v[4:5], v[25:26], v[15:16], -v[4:5]
	v_fma_f64 v[15:16], v[2:3], 0.5, v[9:10]
	v_fma_f64 v[2:3], v[2:3], 0.5, -v[9:10]
	v_fma_f64 v[9:10], -v[13:14], v[11:12], v[27:28]
	v_fma_f64 v[4:5], -v[13:14], v[11:12], v[4:5]
	v_fma_f64 v[11:12], v[25:26], v[13:14], v[15:16]
	v_fma_f64 v[2:3], -v[25:26], v[13:14], v[2:3]
	ds_write2_b64 v104, v[11:12], v[9:10] offset0:136 offset1:137
	ds_write_b128 v8, v[2:5] offset:7616
	ds_read_b128 v[2:5], v104 offset:1632
	ds_read_b128 v[9:12], v8 offset:7072
	global_load_dwordx4 v[13:16], v[6:7], off offset:672
	s_waitcnt lgkmcnt(0)
	v_add_f64 v[25:26], v[2:3], -v[9:10]
	v_add_f64 v[27:28], v[4:5], v[11:12]
	v_add_f64 v[4:5], v[4:5], -v[11:12]
	v_add_f64 v[2:3], v[2:3], v[9:10]
	v_mul_f64 v[11:12], v[25:26], 0.5
	v_mul_f64 v[25:26], v[27:28], 0.5
	;; [unrolled: 1-line block ×3, first 2 shown]
	s_waitcnt vmcnt(2)
	v_mul_f64 v[9:10], v[11:12], v[23:24]
	v_fma_f64 v[27:28], v[25:26], v[23:24], v[4:5]
	v_fma_f64 v[4:5], v[25:26], v[23:24], -v[4:5]
	v_fma_f64 v[23:24], v[2:3], 0.5, v[9:10]
	v_fma_f64 v[2:3], v[2:3], 0.5, -v[9:10]
	v_fma_f64 v[9:10], -v[21:22], v[11:12], v[27:28]
	v_fma_f64 v[4:5], -v[21:22], v[11:12], v[4:5]
	v_fma_f64 v[11:12], v[25:26], v[21:22], v[23:24]
	v_fma_f64 v[2:3], -v[25:26], v[21:22], v[2:3]
	ds_write2_b64 v104, v[11:12], v[9:10] offset0:204 offset1:205
	ds_write_b128 v8, v[2:5] offset:7072
	ds_read_b128 v[2:5], v104 offset:2176
	ds_read_b128 v[9:12], v8 offset:6528
	global_load_dwordx4 v[21:24], v[6:7], off offset:1216
	s_waitcnt lgkmcnt(0)
	v_add_f64 v[25:26], v[2:3], -v[9:10]
	v_add_f64 v[27:28], v[4:5], v[11:12]
	v_add_f64 v[4:5], v[4:5], -v[11:12]
	v_add_f64 v[2:3], v[2:3], v[9:10]
	v_mul_f64 v[11:12], v[25:26], 0.5
	v_mul_f64 v[25:26], v[27:28], 0.5
	;; [unrolled: 1-line block ×3, first 2 shown]
	s_waitcnt vmcnt(2)
	v_mul_f64 v[9:10], v[11:12], v[19:20]
	v_fma_f64 v[27:28], v[25:26], v[19:20], v[4:5]
	v_fma_f64 v[4:5], v[25:26], v[19:20], -v[4:5]
	v_fma_f64 v[19:20], v[2:3], 0.5, v[9:10]
	v_fma_f64 v[2:3], v[2:3], 0.5, -v[9:10]
	v_fma_f64 v[9:10], -v[17:18], v[11:12], v[27:28]
	v_fma_f64 v[4:5], -v[17:18], v[11:12], v[4:5]
	v_add_nc_u32_e32 v27, 0x800, v104
	v_fma_f64 v[11:12], v[25:26], v[17:18], v[19:20]
	v_fma_f64 v[2:3], -v[25:26], v[17:18], v[2:3]
	ds_write2_b64 v27, v[11:12], v[9:10] offset0:16 offset1:17
	ds_write_b128 v8, v[2:5] offset:6528
	ds_read_b128 v[2:5], v104 offset:2720
	ds_read_b128 v[9:12], v8 offset:5984
	global_load_dwordx4 v[17:20], v[6:7], off offset:1760
	s_waitcnt lgkmcnt(0)
	v_add_f64 v[6:7], v[2:3], -v[9:10]
	v_add_f64 v[25:26], v[4:5], v[11:12]
	v_add_f64 v[4:5], v[4:5], -v[11:12]
	v_add_f64 v[2:3], v[2:3], v[9:10]
	v_mul_f64 v[6:7], v[6:7], 0.5
	v_mul_f64 v[11:12], v[25:26], 0.5
	;; [unrolled: 1-line block ×3, first 2 shown]
	s_waitcnt vmcnt(2)
	v_mul_f64 v[9:10], v[6:7], v[15:16]
	v_fma_f64 v[25:26], v[11:12], v[15:16], v[4:5]
	v_fma_f64 v[4:5], v[11:12], v[15:16], -v[4:5]
	v_fma_f64 v[15:16], v[2:3], 0.5, v[9:10]
	v_fma_f64 v[2:3], v[2:3], 0.5, -v[9:10]
	v_fma_f64 v[9:10], -v[13:14], v[6:7], v[25:26]
	v_fma_f64 v[4:5], -v[13:14], v[6:7], v[4:5]
	v_fma_f64 v[6:7], v[11:12], v[13:14], v[15:16]
	v_fma_f64 v[2:3], -v[11:12], v[13:14], v[2:3]
	ds_write2_b64 v27, v[6:7], v[9:10] offset0:84 offset1:85
	ds_write_b128 v8, v[2:5] offset:5984
	ds_read_b128 v[2:5], v104 offset:3264
	ds_read_b128 v[9:12], v8 offset:5440
	s_waitcnt lgkmcnt(0)
	v_add_f64 v[6:7], v[2:3], -v[9:10]
	v_add_f64 v[13:14], v[4:5], v[11:12]
	v_add_f64 v[4:5], v[4:5], -v[11:12]
	v_add_f64 v[2:3], v[2:3], v[9:10]
	v_mul_f64 v[6:7], v[6:7], 0.5
	v_mul_f64 v[11:12], v[13:14], 0.5
	;; [unrolled: 1-line block ×3, first 2 shown]
	s_waitcnt vmcnt(1)
	v_mul_f64 v[9:10], v[6:7], v[23:24]
	v_fma_f64 v[13:14], v[11:12], v[23:24], v[4:5]
	v_fma_f64 v[4:5], v[11:12], v[23:24], -v[4:5]
	v_fma_f64 v[15:16], v[2:3], 0.5, v[9:10]
	v_fma_f64 v[2:3], v[2:3], 0.5, -v[9:10]
	v_fma_f64 v[9:10], -v[21:22], v[6:7], v[13:14]
	v_fma_f64 v[4:5], -v[21:22], v[6:7], v[4:5]
	v_fma_f64 v[6:7], v[11:12], v[21:22], v[15:16]
	v_fma_f64 v[2:3], -v[11:12], v[21:22], v[2:3]
	ds_write2_b64 v27, v[6:7], v[9:10] offset0:152 offset1:153
	ds_write_b128 v8, v[2:5] offset:5440
	ds_read_b128 v[2:5], v104 offset:3808
	ds_read_b128 v[9:12], v8 offset:4896
	s_waitcnt lgkmcnt(0)
	v_add_f64 v[6:7], v[2:3], -v[9:10]
	v_add_f64 v[13:14], v[4:5], v[11:12]
	v_add_f64 v[4:5], v[4:5], -v[11:12]
	v_add_f64 v[2:3], v[2:3], v[9:10]
	v_mul_f64 v[6:7], v[6:7], 0.5
	v_mul_f64 v[11:12], v[13:14], 0.5
	;; [unrolled: 1-line block ×3, first 2 shown]
	s_waitcnt vmcnt(0)
	v_mul_f64 v[9:10], v[6:7], v[19:20]
	v_fma_f64 v[13:14], v[11:12], v[19:20], v[4:5]
	v_fma_f64 v[4:5], v[11:12], v[19:20], -v[4:5]
	v_fma_f64 v[15:16], v[2:3], 0.5, v[9:10]
	v_fma_f64 v[2:3], v[2:3], 0.5, -v[9:10]
	v_fma_f64 v[9:10], -v[17:18], v[6:7], v[13:14]
	v_fma_f64 v[4:5], -v[17:18], v[6:7], v[4:5]
	v_fma_f64 v[6:7], v[11:12], v[17:18], v[15:16]
	v_fma_f64 v[2:3], -v[11:12], v[17:18], v[2:3]
	ds_write2_b64 v27, v[6:7], v[9:10] offset0:220 offset1:221
	ds_write_b128 v8, v[2:5] offset:4896
	s_waitcnt lgkmcnt(0)
	s_barrier
	buffer_gl0_inv
	s_and_saveexec_b32 s0, vcc_lo
	s_cbranch_execz .LBB0_19
; %bb.17:
	ds_read_b128 v[4:7], v104
	ds_read_b128 v[8:11], v104 offset:544
	ds_read_b128 v[12:15], v104 offset:1088
	;; [unrolled: 1-line block ×3, first 2 shown]
	v_add_co_u32 v2, vcc_lo, s2, v70
	v_add_co_ci_u32_e32 v3, vcc_lo, s3, v71, vcc_lo
	ds_read_b128 v[20:23], v104 offset:2176
	ds_read_b128 v[24:27], v104 offset:2720
	;; [unrolled: 1-line block ×5, first 2 shown]
	v_add_co_u32 v0, vcc_lo, v2, v0
	v_add_co_ci_u32_e32 v1, vcc_lo, v3, v1, vcc_lo
	s_waitcnt lgkmcnt(8)
	global_store_dwordx4 v[0:1], v[4:7], off
	s_waitcnt lgkmcnt(7)
	global_store_dwordx4 v[0:1], v[8:11], off offset:544
	s_waitcnt lgkmcnt(6)
	global_store_dwordx4 v[0:1], v[12:15], off offset:1088
	s_waitcnt lgkmcnt(5)
	global_store_dwordx4 v[0:1], v[16:19], off offset:1632
	ds_read_b128 v[4:7], v104 offset:4896
	ds_read_b128 v[8:11], v104 offset:5440
	;; [unrolled: 1-line block ×7, first 2 shown]
	v_add_co_u32 v52, vcc_lo, 0x800, v0
	v_add_co_ci_u32_e32 v53, vcc_lo, 0, v1, vcc_lo
	v_add_co_u32 v54, vcc_lo, 0x1000, v0
	v_add_co_ci_u32_e32 v55, vcc_lo, 0, v1, vcc_lo
	;; [unrolled: 2-line block ×3, first 2 shown]
	v_cmp_eq_u32_e32 vcc_lo, 33, v68
	s_waitcnt lgkmcnt(11)
	global_store_dwordx4 v[52:53], v[20:23], off offset:128
	s_waitcnt lgkmcnt(10)
	global_store_dwordx4 v[52:53], v[24:27], off offset:672
	;; [unrolled: 2-line block ×12, first 2 shown]
	s_and_b32 exec_lo, exec_lo, vcc_lo
	s_cbranch_execz .LBB0_19
; %bb.18:
	ds_read_b128 v[4:7], v104 offset:8176
	v_add_co_u32 v0, vcc_lo, 0x2000, v2
	v_add_co_ci_u32_e32 v1, vcc_lo, 0, v3, vcc_lo
	s_waitcnt lgkmcnt(0)
	global_store_dwordx4 v[0:1], v[4:7], off offset:512
.LBB0_19:
	s_endpgm
	.section	.rodata,"a",@progbits
	.p2align	6, 0x0
	.amdhsa_kernel fft_rtc_back_len544_factors_17_2_16_wgs_102_tpt_34_halfLds_dp_ip_CI_unitstride_sbrr_R2C_dirReg
		.amdhsa_group_segment_fixed_size 0
		.amdhsa_private_segment_fixed_size 0
		.amdhsa_kernarg_size 88
		.amdhsa_user_sgpr_count 6
		.amdhsa_user_sgpr_private_segment_buffer 1
		.amdhsa_user_sgpr_dispatch_ptr 0
		.amdhsa_user_sgpr_queue_ptr 0
		.amdhsa_user_sgpr_kernarg_segment_ptr 1
		.amdhsa_user_sgpr_dispatch_id 0
		.amdhsa_user_sgpr_flat_scratch_init 0
		.amdhsa_user_sgpr_private_segment_size 0
		.amdhsa_wavefront_size32 1
		.amdhsa_uses_dynamic_stack 0
		.amdhsa_system_sgpr_private_segment_wavefront_offset 0
		.amdhsa_system_sgpr_workgroup_id_x 1
		.amdhsa_system_sgpr_workgroup_id_y 0
		.amdhsa_system_sgpr_workgroup_id_z 0
		.amdhsa_system_sgpr_workgroup_info 0
		.amdhsa_system_vgpr_workitem_id 0
		.amdhsa_next_free_vgpr 166
		.amdhsa_next_free_sgpr 52
		.amdhsa_reserve_vcc 1
		.amdhsa_reserve_flat_scratch 0
		.amdhsa_float_round_mode_32 0
		.amdhsa_float_round_mode_16_64 0
		.amdhsa_float_denorm_mode_32 3
		.amdhsa_float_denorm_mode_16_64 3
		.amdhsa_dx10_clamp 1
		.amdhsa_ieee_mode 1
		.amdhsa_fp16_overflow 0
		.amdhsa_workgroup_processor_mode 1
		.amdhsa_memory_ordered 1
		.amdhsa_forward_progress 0
		.amdhsa_shared_vgpr_count 0
		.amdhsa_exception_fp_ieee_invalid_op 0
		.amdhsa_exception_fp_denorm_src 0
		.amdhsa_exception_fp_ieee_div_zero 0
		.amdhsa_exception_fp_ieee_overflow 0
		.amdhsa_exception_fp_ieee_underflow 0
		.amdhsa_exception_fp_ieee_inexact 0
		.amdhsa_exception_int_div_zero 0
	.end_amdhsa_kernel
	.text
.Lfunc_end0:
	.size	fft_rtc_back_len544_factors_17_2_16_wgs_102_tpt_34_halfLds_dp_ip_CI_unitstride_sbrr_R2C_dirReg, .Lfunc_end0-fft_rtc_back_len544_factors_17_2_16_wgs_102_tpt_34_halfLds_dp_ip_CI_unitstride_sbrr_R2C_dirReg
                                        ; -- End function
	.section	.AMDGPU.csdata,"",@progbits
; Kernel info:
; codeLenInByte = 13864
; NumSgprs: 54
; NumVgprs: 166
; ScratchSize: 0
; MemoryBound: 0
; FloatMode: 240
; IeeeMode: 1
; LDSByteSize: 0 bytes/workgroup (compile time only)
; SGPRBlocks: 6
; VGPRBlocks: 20
; NumSGPRsForWavesPerEU: 54
; NumVGPRsForWavesPerEU: 166
; Occupancy: 5
; WaveLimiterHint : 1
; COMPUTE_PGM_RSRC2:SCRATCH_EN: 0
; COMPUTE_PGM_RSRC2:USER_SGPR: 6
; COMPUTE_PGM_RSRC2:TRAP_HANDLER: 0
; COMPUTE_PGM_RSRC2:TGID_X_EN: 1
; COMPUTE_PGM_RSRC2:TGID_Y_EN: 0
; COMPUTE_PGM_RSRC2:TGID_Z_EN: 0
; COMPUTE_PGM_RSRC2:TIDIG_COMP_CNT: 0
	.text
	.p2alignl 6, 3214868480
	.fill 48, 4, 3214868480
	.type	__hip_cuid_e0253c2cbd035470,@object ; @__hip_cuid_e0253c2cbd035470
	.section	.bss,"aw",@nobits
	.globl	__hip_cuid_e0253c2cbd035470
__hip_cuid_e0253c2cbd035470:
	.byte	0                               ; 0x0
	.size	__hip_cuid_e0253c2cbd035470, 1

	.ident	"AMD clang version 19.0.0git (https://github.com/RadeonOpenCompute/llvm-project roc-6.4.0 25133 c7fe45cf4b819c5991fe208aaa96edf142730f1d)"
	.section	".note.GNU-stack","",@progbits
	.addrsig
	.addrsig_sym __hip_cuid_e0253c2cbd035470
	.amdgpu_metadata
---
amdhsa.kernels:
  - .args:
      - .actual_access:  read_only
        .address_space:  global
        .offset:         0
        .size:           8
        .value_kind:     global_buffer
      - .offset:         8
        .size:           8
        .value_kind:     by_value
      - .actual_access:  read_only
        .address_space:  global
        .offset:         16
        .size:           8
        .value_kind:     global_buffer
      - .actual_access:  read_only
        .address_space:  global
        .offset:         24
        .size:           8
        .value_kind:     global_buffer
      - .offset:         32
        .size:           8
        .value_kind:     by_value
      - .actual_access:  read_only
        .address_space:  global
        .offset:         40
        .size:           8
        .value_kind:     global_buffer
      - .actual_access:  read_only
        .address_space:  global
        .offset:         48
        .size:           8
        .value_kind:     global_buffer
      - .offset:         56
        .size:           4
        .value_kind:     by_value
      - .actual_access:  read_only
        .address_space:  global
        .offset:         64
        .size:           8
        .value_kind:     global_buffer
      - .actual_access:  read_only
        .address_space:  global
        .offset:         72
        .size:           8
        .value_kind:     global_buffer
      - .address_space:  global
        .offset:         80
        .size:           8
        .value_kind:     global_buffer
    .group_segment_fixed_size: 0
    .kernarg_segment_align: 8
    .kernarg_segment_size: 88
    .language:       OpenCL C
    .language_version:
      - 2
      - 0
    .max_flat_workgroup_size: 102
    .name:           fft_rtc_back_len544_factors_17_2_16_wgs_102_tpt_34_halfLds_dp_ip_CI_unitstride_sbrr_R2C_dirReg
    .private_segment_fixed_size: 0
    .sgpr_count:     54
    .sgpr_spill_count: 0
    .symbol:         fft_rtc_back_len544_factors_17_2_16_wgs_102_tpt_34_halfLds_dp_ip_CI_unitstride_sbrr_R2C_dirReg.kd
    .uniform_work_group_size: 1
    .uses_dynamic_stack: false
    .vgpr_count:     166
    .vgpr_spill_count: 0
    .wavefront_size: 32
    .workgroup_processor_mode: 1
amdhsa.target:   amdgcn-amd-amdhsa--gfx1030
amdhsa.version:
  - 1
  - 2
...

	.end_amdgpu_metadata
